;; amdgpu-corpus repo=ROCm/vllm kind=compiled arch=gfx1030 opt=O3
	.amdgcn_target "amdgcn-amd-amdhsa--gfx1030"
	.amdhsa_code_object_version 6
	.section	.text._Z14LLGemm1_kernelIN3c104HalfELi2EEvPKT_S4_PS2_i,"axG",@progbits,_Z14LLGemm1_kernelIN3c104HalfELi2EEvPKT_S4_PS2_i,comdat
	.protected	_Z14LLGemm1_kernelIN3c104HalfELi2EEvPKT_S4_PS2_i ; -- Begin function _Z14LLGemm1_kernelIN3c104HalfELi2EEvPKT_S4_PS2_i
	.globl	_Z14LLGemm1_kernelIN3c104HalfELi2EEvPKT_S4_PS2_i
	.p2align	8
	.type	_Z14LLGemm1_kernelIN3c104HalfELi2EEvPKT_S4_PS2_i,@function
_Z14LLGemm1_kernelIN3c104HalfELi2EEvPKT_S4_PS2_i: ; @_Z14LLGemm1_kernelIN3c104HalfELi2EEvPKT_S4_PS2_i
; %bb.0:
	s_clause 0x2
	s_load_dword s10, s[4:5], 0x18
	s_load_dwordx4 s[0:3], s[4:5], 0x0
	s_load_dwordx2 s[8:9], s[4:5], 0x10
	v_lshlrev_b32_e32 v13, 3, v0
                                        ; implicit-def: $vgpr4
                                        ; implicit-def: $vgpr8
                                        ; implicit-def: $vgpr12
	s_waitcnt lgkmcnt(0)
	v_cmp_gt_i32_e32 vcc_lo, s10, v13
	s_and_saveexec_b32 s7, vcc_lo
	s_cbranch_execz .LBB0_2
; %bb.1:
	s_mul_i32 s11, s6, s10
	v_mov_b32_e32 v2, 0
	s_bfe_u32 s11, s11, 0x1d0002
	s_lshr_b32 s10, s10, 3
	v_add_nc_u32_e32 v1, s11, v0
	s_mov_b32 s11, 0
	v_lshlrev_b32_e32 v9, 4, v0
	v_lshlrev_b64 v[1:2], 4, v[1:2]
	v_add_co_u32 v1, s0, s0, v1
	v_add_co_ci_u32_e64 v2, null, s1, v2, s0
	s_lshl_b64 s[0:1], s[10:11], 4
	v_add_co_u32 v3, s0, v1, s0
	v_add_co_ci_u32_e64 v4, null, s1, v2, s0
	s_clause 0x1
	global_load_dwordx4 v[5:8], v[1:2], off slc
	global_load_dwordx4 v[1:4], v[3:4], off slc
	global_load_dwordx4 v[9:12], v9, s[2:3]
.LBB0_2:
	s_or_b32 exec_lo, exec_lo, s7
	s_waitcnt vmcnt(0)
	v_pk_mul_f16 v5, v9, v5
	v_pk_mul_f16 v1, v9, v1
	v_pk_fma_f16 v5, v6, v10, v5
	v_pk_fma_f16 v1, v2, v10, v1
	;; [unrolled: 1-line block ×4, first 2 shown]
	v_mbcnt_lo_u32_b32 v5, -1, 0
	v_pk_fma_f16 v2, v8, v12, v2
	v_pk_fma_f16 v1, v4, v12, v1
	v_xor_b32_e32 v3, 16, v5
	v_xor_b32_e32 v10, 1, v5
	v_cvt_f32_f16_e32 v4, v2
	v_cvt_f32_f16_sdwa v2, v2 dst_sel:DWORD dst_unused:UNUSED_PAD src0_sel:WORD_1
	v_cvt_f32_f16_e32 v6, v1
	v_cvt_f32_f16_sdwa v1, v1 dst_sel:DWORD dst_unused:UNUSED_PAD src0_sel:WORD_1
	v_cmp_gt_i32_e64 s0, 32, v3
	v_add_f32_e32 v2, v4, v2
	v_add_f32_e32 v4, v6, v1
	v_cndmask_b32_e64 v3, v5, v3, s0
	s_mov_b32 s0, exec_lo
	v_cndmask_b32_e32 v4, 0, v4, vcc_lo
	v_lshlrev_b32_e32 v1, 2, v3
	v_cndmask_b32_e32 v3, 0, v2, vcc_lo
	v_xor_b32_e32 v2, 8, v5
	ds_bpermute_b32 v7, v1, v4
	ds_bpermute_b32 v6, v1, v3
	v_cmp_gt_i32_e32 vcc_lo, 32, v2
	v_cndmask_b32_e32 v2, v5, v2, vcc_lo
	v_lshlrev_b32_e32 v2, 2, v2
	s_waitcnt lgkmcnt(1)
	v_add_f32_e32 v4, v4, v7
	s_waitcnt lgkmcnt(0)
	v_add_f32_e32 v6, v3, v6
	v_xor_b32_e32 v3, 4, v5
	ds_bpermute_b32 v8, v2, v4
	ds_bpermute_b32 v7, v2, v6
	v_cmp_gt_i32_e32 vcc_lo, 32, v3
	v_cndmask_b32_e32 v3, v5, v3, vcc_lo
	v_lshlrev_b32_e32 v3, 2, v3
	s_waitcnt lgkmcnt(0)
	v_add_f32_e32 v6, v6, v7
	v_add_f32_e32 v7, v4, v8
	v_xor_b32_e32 v4, 2, v5
	ds_bpermute_b32 v8, v3, v6
	ds_bpermute_b32 v9, v3, v7
	v_cmp_gt_i32_e32 vcc_lo, 32, v4
	v_cndmask_b32_e32 v4, v5, v4, vcc_lo
	v_cmp_gt_i32_e32 vcc_lo, 32, v10
	v_lshlrev_b32_e32 v4, 2, v4
	v_cndmask_b32_e32 v5, v5, v10, vcc_lo
	v_lshlrev_b32_e32 v5, 2, v5
	s_waitcnt lgkmcnt(1)
	v_add_f32_e32 v6, v6, v8
	s_waitcnt lgkmcnt(0)
	v_add_f32_e32 v8, v7, v9
	ds_bpermute_b32 v7, v4, v6
	ds_bpermute_b32 v9, v4, v8
	s_waitcnt lgkmcnt(1)
	v_add_f32_e32 v7, v6, v7
	s_waitcnt lgkmcnt(0)
	v_add_f32_e32 v8, v8, v9
	v_and_b32_e32 v6, 31, v0
	ds_bpermute_b32 v9, v5, v7
	ds_bpermute_b32 v10, v5, v8
	v_cmpx_gt_u32_e32 2, v6
	s_cbranch_execz .LBB0_4
; %bb.3:
	v_lshrrev_b32_e32 v11, 3, v0
	s_waitcnt lgkmcnt(0)
	v_add_f32_e32 v8, v8, v10
	v_add_f32_e32 v7, v7, v9
	v_cmp_eq_u32_e32 vcc_lo, 1, v6
	v_and_b32_e32 v11, 0x7c, v11
	v_cndmask_b32_e32 v7, v7, v8, vcc_lo
	v_lshl_or_b32 v9, v6, 7, v11
	ds_write_b32 v9, v7
.LBB0_4:
	s_or_b32 exec_lo, exec_lo, s0
	s_waitcnt lgkmcnt(0)
	s_barrier
	buffer_gl0_inv
	s_mov_b32 s0, exec_lo
	v_cmpx_gt_u32_e32 32, v0
	s_cbranch_execz .LBB0_9
; %bb.5:
	s_load_dword s0, s[4:5], 0x2c
	v_and_b32_e32 v7, 15, v0
	v_mov_b32_e32 v0, 0
	s_waitcnt lgkmcnt(0)
	s_and_b32 s0, 0xffff, s0
	s_lshr_b32 s0, s0, 5
	v_cmp_gt_u32_e32 vcc_lo, s0, v7
	s_and_saveexec_b32 s0, vcc_lo
; %bb.6:
	v_lshlrev_b32_e32 v0, 2, v7
	v_and_or_b32 v0, 0x1f80, v13, v0
	ds_read_b32 v0, v0
; %bb.7:
	s_or_b32 exec_lo, exec_lo, s0
	s_waitcnt lgkmcnt(0)
	ds_bpermute_b32 v2, v2, v0
	v_cmp_eq_u32_e32 vcc_lo, 0, v6
	s_mov_b32 s1, 0
	s_waitcnt lgkmcnt(0)
	v_add_f32_e32 v0, v0, v2
	ds_bpermute_b32 v2, v3, v0
	s_waitcnt lgkmcnt(0)
	v_add_f32_e32 v0, v0, v2
	ds_bpermute_b32 v2, v4, v0
	;; [unrolled: 3-line block ×4, first 2 shown]
	s_and_b32 exec_lo, exec_lo, vcc_lo
	s_cbranch_execz .LBB0_9
; %bb.8:
	v_cvt_f16_f32_e32 v0, v0
	s_waitcnt lgkmcnt(0)
	v_cvt_f16_f32_e32 v1, v1
	s_and_b32 s0, s6, 0x7fffffff
	s_lshl_b64 s[0:1], s[0:1], 2
	v_pack_b32_f16 v0, v0, v1
	v_mov_b32_e32 v1, 0
	s_add_u32 s0, s8, s0
	s_addc_u32 s1, s9, s1
	global_store_dword v1, v0, s[0:1]
.LBB0_9:
	s_endpgm
	.section	.rodata,"a",@progbits
	.p2align	6, 0x0
	.amdhsa_kernel _Z14LLGemm1_kernelIN3c104HalfELi2EEvPKT_S4_PS2_i
		.amdhsa_group_segment_fixed_size 256
		.amdhsa_private_segment_fixed_size 0
		.amdhsa_kernarg_size 288
		.amdhsa_user_sgpr_count 6
		.amdhsa_user_sgpr_private_segment_buffer 1
		.amdhsa_user_sgpr_dispatch_ptr 0
		.amdhsa_user_sgpr_queue_ptr 0
		.amdhsa_user_sgpr_kernarg_segment_ptr 1
		.amdhsa_user_sgpr_dispatch_id 0
		.amdhsa_user_sgpr_flat_scratch_init 0
		.amdhsa_user_sgpr_private_segment_size 0
		.amdhsa_wavefront_size32 1
		.amdhsa_uses_dynamic_stack 0
		.amdhsa_system_sgpr_private_segment_wavefront_offset 0
		.amdhsa_system_sgpr_workgroup_id_x 1
		.amdhsa_system_sgpr_workgroup_id_y 0
		.amdhsa_system_sgpr_workgroup_id_z 0
		.amdhsa_system_sgpr_workgroup_info 0
		.amdhsa_system_vgpr_workitem_id 0
		.amdhsa_next_free_vgpr 14
		.amdhsa_next_free_sgpr 12
		.amdhsa_reserve_vcc 1
		.amdhsa_reserve_flat_scratch 0
		.amdhsa_float_round_mode_32 0
		.amdhsa_float_round_mode_16_64 0
		.amdhsa_float_denorm_mode_32 3
		.amdhsa_float_denorm_mode_16_64 3
		.amdhsa_dx10_clamp 1
		.amdhsa_ieee_mode 1
		.amdhsa_fp16_overflow 0
		.amdhsa_workgroup_processor_mode 1
		.amdhsa_memory_ordered 1
		.amdhsa_forward_progress 1
		.amdhsa_shared_vgpr_count 0
		.amdhsa_exception_fp_ieee_invalid_op 0
		.amdhsa_exception_fp_denorm_src 0
		.amdhsa_exception_fp_ieee_div_zero 0
		.amdhsa_exception_fp_ieee_overflow 0
		.amdhsa_exception_fp_ieee_underflow 0
		.amdhsa_exception_fp_ieee_inexact 0
		.amdhsa_exception_int_div_zero 0
	.end_amdhsa_kernel
	.section	.text._Z14LLGemm1_kernelIN3c104HalfELi2EEvPKT_S4_PS2_i,"axG",@progbits,_Z14LLGemm1_kernelIN3c104HalfELi2EEvPKT_S4_PS2_i,comdat
.Lfunc_end0:
	.size	_Z14LLGemm1_kernelIN3c104HalfELi2EEvPKT_S4_PS2_i, .Lfunc_end0-_Z14LLGemm1_kernelIN3c104HalfELi2EEvPKT_S4_PS2_i
                                        ; -- End function
	.set _Z14LLGemm1_kernelIN3c104HalfELi2EEvPKT_S4_PS2_i.num_vgpr, 14
	.set _Z14LLGemm1_kernelIN3c104HalfELi2EEvPKT_S4_PS2_i.num_agpr, 0
	.set _Z14LLGemm1_kernelIN3c104HalfELi2EEvPKT_S4_PS2_i.numbered_sgpr, 12
	.set _Z14LLGemm1_kernelIN3c104HalfELi2EEvPKT_S4_PS2_i.num_named_barrier, 0
	.set _Z14LLGemm1_kernelIN3c104HalfELi2EEvPKT_S4_PS2_i.private_seg_size, 0
	.set _Z14LLGemm1_kernelIN3c104HalfELi2EEvPKT_S4_PS2_i.uses_vcc, 1
	.set _Z14LLGemm1_kernelIN3c104HalfELi2EEvPKT_S4_PS2_i.uses_flat_scratch, 0
	.set _Z14LLGemm1_kernelIN3c104HalfELi2EEvPKT_S4_PS2_i.has_dyn_sized_stack, 0
	.set _Z14LLGemm1_kernelIN3c104HalfELi2EEvPKT_S4_PS2_i.has_recursion, 0
	.set _Z14LLGemm1_kernelIN3c104HalfELi2EEvPKT_S4_PS2_i.has_indirect_call, 0
	.section	.AMDGPU.csdata,"",@progbits
; Kernel info:
; codeLenInByte = 812
; TotalNumSgprs: 14
; NumVgprs: 14
; ScratchSize: 0
; MemoryBound: 0
; FloatMode: 240
; IeeeMode: 1
; LDSByteSize: 256 bytes/workgroup (compile time only)
; SGPRBlocks: 0
; VGPRBlocks: 1
; NumSGPRsForWavesPerEU: 14
; NumVGPRsForWavesPerEU: 14
; Occupancy: 16
; WaveLimiterHint : 0
; COMPUTE_PGM_RSRC2:SCRATCH_EN: 0
; COMPUTE_PGM_RSRC2:USER_SGPR: 6
; COMPUTE_PGM_RSRC2:TRAP_HANDLER: 0
; COMPUTE_PGM_RSRC2:TGID_X_EN: 1
; COMPUTE_PGM_RSRC2:TGID_Y_EN: 0
; COMPUTE_PGM_RSRC2:TGID_Z_EN: 0
; COMPUTE_PGM_RSRC2:TIDIG_COMP_CNT: 0
	.section	.text._Z14LLGemm1_kernelIN3c104HalfELi4EEvPKT_S4_PS2_i,"axG",@progbits,_Z14LLGemm1_kernelIN3c104HalfELi4EEvPKT_S4_PS2_i,comdat
	.protected	_Z14LLGemm1_kernelIN3c104HalfELi4EEvPKT_S4_PS2_i ; -- Begin function _Z14LLGemm1_kernelIN3c104HalfELi4EEvPKT_S4_PS2_i
	.globl	_Z14LLGemm1_kernelIN3c104HalfELi4EEvPKT_S4_PS2_i
	.p2align	8
	.type	_Z14LLGemm1_kernelIN3c104HalfELi4EEvPKT_S4_PS2_i,@function
_Z14LLGemm1_kernelIN3c104HalfELi4EEvPKT_S4_PS2_i: ; @_Z14LLGemm1_kernelIN3c104HalfELi4EEvPKT_S4_PS2_i
; %bb.0:
	s_clause 0x2
	s_load_dword s0, s[4:5], 0x18
	s_load_dwordx4 s[8:11], s[4:5], 0x0
	s_load_dwordx2 s[2:3], s[4:5], 0x10
	v_lshlrev_b32_e32 v21, 3, v0
                                        ; implicit-def: $vgpr4
                                        ; implicit-def: $vgpr8
                                        ; implicit-def: $vgpr12
                                        ; implicit-def: $vgpr16
                                        ; implicit-def: $vgpr20
	s_waitcnt lgkmcnt(0)
	v_cmp_gt_i32_e32 vcc_lo, s0, v21
	s_and_saveexec_b32 s1, vcc_lo
	s_cbranch_execz .LBB1_2
; %bb.1:
	s_mul_i32 s7, s6, s0
	v_mov_b32_e32 v2, 0
	s_bfe_u32 s7, s7, 0x1d0001
	s_lshr_b32 s12, s0, 3
	v_add_nc_u32_e32 v1, s7, v0
	s_mov_b32 s13, 0
	v_lshlrev_b32_e32 v17, 4, v0
	s_lshl_b64 s[14:15], s[12:13], 4
	v_lshlrev_b64 v[3:4], 4, v[1:2]
	v_add3_u32 v1, s12, s12, v1
	v_lshlrev_b64 v[5:6], 4, v[1:2]
	v_add_nc_u32_e32 v1, s12, v1
	v_add_co_u32 v3, s0, s8, v3
	v_add_co_ci_u32_e64 v4, null, s9, v4, s0
	v_lshlrev_b64 v[1:2], 4, v[1:2]
	v_add_co_u32 v7, s0, v3, s14
	v_add_co_ci_u32_e64 v8, null, s15, v4, s0
	v_add_co_u32 v5, s0, s8, v5
	v_add_co_ci_u32_e64 v6, null, s9, v6, s0
	;; [unrolled: 2-line block ×3, first 2 shown]
	s_clause 0x3
	global_load_dwordx4 v[13:16], v[3:4], off slc
	global_load_dwordx4 v[9:12], v[7:8], off slc
	global_load_dwordx4 v[5:8], v[5:6], off slc
	global_load_dwordx4 v[1:4], v[1:2], off slc
	global_load_dwordx4 v[17:20], v17, s[10:11]
.LBB1_2:
	s_or_b32 exec_lo, exec_lo, s1
	s_waitcnt vmcnt(0)
	v_pk_mul_f16 v13, v17, v13
	v_pk_mul_f16 v9, v17, v9
	;; [unrolled: 1-line block ×4, first 2 shown]
	v_pk_fma_f16 v13, v14, v18, v13
	v_pk_fma_f16 v9, v10, v18, v9
	;; [unrolled: 1-line block ×4, first 2 shown]
	v_mbcnt_lo_u32_b32 v6, -1, 0
	v_pk_fma_f16 v2, v15, v19, v13
	v_pk_fma_f16 v9, v11, v19, v9
	;; [unrolled: 1-line block ×4, first 2 shown]
	v_xor_b32_e32 v3, 16, v6
	v_pk_fma_f16 v2, v16, v20, v2
	v_pk_fma_f16 v7, v12, v20, v9
	;; [unrolled: 1-line block ×4, first 2 shown]
	v_cmp_gt_i32_e64 s0, 32, v3
	v_cvt_f32_f16_e32 v4, v2
	v_cvt_f32_f16_sdwa v2, v2 dst_sel:DWORD dst_unused:UNUSED_PAD src0_sel:WORD_1
	v_cvt_f32_f16_e32 v8, v7
	v_cvt_f32_f16_sdwa v7, v7 dst_sel:DWORD dst_unused:UNUSED_PAD src0_sel:WORD_1
	;; [unrolled: 2-line block ×4, first 2 shown]
	v_add_f32_e32 v2, v4, v2
	v_cndmask_b32_e64 v3, v6, v3, s0
	v_add_f32_e32 v4, v8, v7
	v_add_f32_e32 v5, v9, v5
	;; [unrolled: 1-line block ×3, first 2 shown]
	v_cndmask_b32_e32 v8, 0, v2, vcc_lo
	v_lshlrev_b32_e32 v1, 2, v3
	v_cndmask_b32_e32 v3, 0, v4, vcc_lo
	v_cndmask_b32_e32 v4, 0, v5, vcc_lo
	v_cndmask_b32_e32 v5, 0, v7, vcc_lo
	v_xor_b32_e32 v2, 8, v6
	ds_bpermute_b32 v7, v1, v8
	ds_bpermute_b32 v9, v1, v3
	;; [unrolled: 1-line block ×4, first 2 shown]
	v_cmp_gt_i32_e32 vcc_lo, 32, v2
	v_xor_b32_e32 v14, 1, v6
	s_mov_b32 s0, exec_lo
	v_cndmask_b32_e32 v2, v6, v2, vcc_lo
	v_lshlrev_b32_e32 v2, 2, v2
	s_waitcnt lgkmcnt(3)
	v_add_f32_e32 v7, v8, v7
	s_waitcnt lgkmcnt(2)
	v_add_f32_e32 v8, v3, v9
	;; [unrolled: 2-line block ×4, first 2 shown]
	v_xor_b32_e32 v3, 4, v6
	ds_bpermute_b32 v9, v2, v7
	ds_bpermute_b32 v10, v2, v8
	;; [unrolled: 1-line block ×4, first 2 shown]
	v_cmp_gt_i32_e32 vcc_lo, 32, v3
	v_cndmask_b32_e32 v3, v6, v3, vcc_lo
	v_lshlrev_b32_e32 v3, 2, v3
	s_waitcnt lgkmcnt(3)
	v_add_f32_e32 v7, v7, v9
	s_waitcnt lgkmcnt(2)
	v_add_f32_e32 v8, v8, v10
	;; [unrolled: 2-line block ×4, first 2 shown]
	v_xor_b32_e32 v4, 2, v6
	ds_bpermute_b32 v10, v3, v7
	ds_bpermute_b32 v11, v3, v8
	;; [unrolled: 1-line block ×4, first 2 shown]
	v_cmp_gt_i32_e32 vcc_lo, 32, v4
	v_cndmask_b32_e32 v4, v6, v4, vcc_lo
	v_cmp_gt_i32_e32 vcc_lo, 32, v14
	v_lshlrev_b32_e32 v4, 2, v4
	v_cndmask_b32_e32 v6, v6, v14, vcc_lo
	s_waitcnt lgkmcnt(3)
	v_add_f32_e32 v7, v7, v10
	s_waitcnt lgkmcnt(2)
	v_add_f32_e32 v8, v8, v11
	;; [unrolled: 2-line block ×4, first 2 shown]
	v_lshlrev_b32_e32 v6, 2, v6
	ds_bpermute_b32 v9, v4, v7
	ds_bpermute_b32 v10, v4, v8
	;; [unrolled: 1-line block ×4, first 2 shown]
	s_waitcnt lgkmcnt(3)
	v_add_f32_e32 v9, v7, v9
	s_waitcnt lgkmcnt(2)
	v_add_f32_e32 v10, v8, v10
	;; [unrolled: 2-line block ×4, first 2 shown]
	v_and_b32_e32 v7, 31, v0
	ds_bpermute_b32 v13, v6, v9
	ds_bpermute_b32 v14, v6, v10
	;; [unrolled: 1-line block ×4, first 2 shown]
	v_lshrrev_b32_e32 v5, 5, v0
	v_cmpx_gt_u32_e32 4, v7
	s_cbranch_execz .LBB1_4
; %bb.3:
	s_waitcnt lgkmcnt(3)
	v_add_f32_e32 v9, v9, v13
	s_waitcnt lgkmcnt(2)
	v_add_f32_e32 v10, v10, v14
	v_cmp_eq_u32_e32 vcc_lo, 1, v7
	s_waitcnt lgkmcnt(1)
	v_add_f32_e32 v11, v11, v15
	s_waitcnt lgkmcnt(0)
	v_add_f32_e32 v8, v8, v12
	v_cndmask_b32_e32 v9, v9, v10, vcc_lo
	v_cmp_eq_u32_e32 vcc_lo, 2, v7
	v_lshlrev_b32_e32 v10, 2, v5
	v_cndmask_b32_e32 v9, v9, v11, vcc_lo
	v_cmp_eq_u32_e32 vcc_lo, 3, v7
	v_lshl_or_b32 v10, v7, 7, v10
	v_cndmask_b32_e32 v8, v9, v8, vcc_lo
	ds_write_b32 v10, v8
.LBB1_4:
	s_or_b32 exec_lo, exec_lo, s0
	s_waitcnt lgkmcnt(0)
	s_barrier
	buffer_gl0_inv
	s_mov_b32 s0, exec_lo
	v_cmpx_gt_u32_e32 64, v0
	s_cbranch_execz .LBB1_9
; %bb.5:
	s_load_dword s0, s[4:5], 0x2c
	v_and_b32_e32 v8, 15, v0
	v_mov_b32_e32 v0, 0
	s_waitcnt lgkmcnt(0)
	s_and_b32 s0, 0xffff, s0
	s_lshr_b32 s0, s0, 5
	v_cmp_gt_u32_e32 vcc_lo, s0, v8
	s_and_saveexec_b32 s0, vcc_lo
; %bb.6:
	v_lshlrev_b32_e32 v0, 2, v8
	v_and_or_b32 v0, 0x1f80, v21, v0
	ds_read_b32 v0, v0
; %bb.7:
	s_or_b32 exec_lo, exec_lo, s0
	s_waitcnt lgkmcnt(0)
	ds_bpermute_b32 v2, v2, v0
	v_cmp_eq_u32_e32 vcc_lo, 0, v7
	s_waitcnt lgkmcnt(0)
	v_add_f32_e32 v0, v0, v2
	ds_bpermute_b32 v2, v3, v0
	s_waitcnt lgkmcnt(0)
	v_add_f32_e32 v0, v0, v2
	ds_bpermute_b32 v2, v4, v0
	;; [unrolled: 3-line block ×4, first 2 shown]
	s_and_b32 exec_lo, exec_lo, vcc_lo
	s_cbranch_execz .LBB1_9
; %bb.8:
	s_lshl_b32 s0, s6, 1
	v_mov_b32_e32 v3, 0
	v_and_or_b32 v2, 0x7ffffffe, s0, v5
	v_cvt_f16_f32_e32 v4, v0
	s_waitcnt lgkmcnt(0)
	v_cvt_f16_f32_e32 v5, v1
	v_lshlrev_b64 v[0:1], 2, v[2:3]
	v_pack_b32_f16 v2, v4, v5
	v_add_co_u32 v0, vcc_lo, s2, v0
	v_add_co_ci_u32_e64 v1, null, s3, v1, vcc_lo
	global_store_dword v[0:1], v2, off
.LBB1_9:
	s_endpgm
	.section	.rodata,"a",@progbits
	.p2align	6, 0x0
	.amdhsa_kernel _Z14LLGemm1_kernelIN3c104HalfELi4EEvPKT_S4_PS2_i
		.amdhsa_group_segment_fixed_size 512
		.amdhsa_private_segment_fixed_size 0
		.amdhsa_kernarg_size 288
		.amdhsa_user_sgpr_count 6
		.amdhsa_user_sgpr_private_segment_buffer 1
		.amdhsa_user_sgpr_dispatch_ptr 0
		.amdhsa_user_sgpr_queue_ptr 0
		.amdhsa_user_sgpr_kernarg_segment_ptr 1
		.amdhsa_user_sgpr_dispatch_id 0
		.amdhsa_user_sgpr_flat_scratch_init 0
		.amdhsa_user_sgpr_private_segment_size 0
		.amdhsa_wavefront_size32 1
		.amdhsa_uses_dynamic_stack 0
		.amdhsa_system_sgpr_private_segment_wavefront_offset 0
		.amdhsa_system_sgpr_workgroup_id_x 1
		.amdhsa_system_sgpr_workgroup_id_y 0
		.amdhsa_system_sgpr_workgroup_id_z 0
		.amdhsa_system_sgpr_workgroup_info 0
		.amdhsa_system_vgpr_workitem_id 0
		.amdhsa_next_free_vgpr 22
		.amdhsa_next_free_sgpr 16
		.amdhsa_reserve_vcc 1
		.amdhsa_reserve_flat_scratch 0
		.amdhsa_float_round_mode_32 0
		.amdhsa_float_round_mode_16_64 0
		.amdhsa_float_denorm_mode_32 3
		.amdhsa_float_denorm_mode_16_64 3
		.amdhsa_dx10_clamp 1
		.amdhsa_ieee_mode 1
		.amdhsa_fp16_overflow 0
		.amdhsa_workgroup_processor_mode 1
		.amdhsa_memory_ordered 1
		.amdhsa_forward_progress 1
		.amdhsa_shared_vgpr_count 0
		.amdhsa_exception_fp_ieee_invalid_op 0
		.amdhsa_exception_fp_denorm_src 0
		.amdhsa_exception_fp_ieee_div_zero 0
		.amdhsa_exception_fp_ieee_overflow 0
		.amdhsa_exception_fp_ieee_underflow 0
		.amdhsa_exception_fp_ieee_inexact 0
		.amdhsa_exception_int_div_zero 0
	.end_amdhsa_kernel
	.section	.text._Z14LLGemm1_kernelIN3c104HalfELi4EEvPKT_S4_PS2_i,"axG",@progbits,_Z14LLGemm1_kernelIN3c104HalfELi4EEvPKT_S4_PS2_i,comdat
.Lfunc_end1:
	.size	_Z14LLGemm1_kernelIN3c104HalfELi4EEvPKT_S4_PS2_i, .Lfunc_end1-_Z14LLGemm1_kernelIN3c104HalfELi4EEvPKT_S4_PS2_i
                                        ; -- End function
	.set _Z14LLGemm1_kernelIN3c104HalfELi4EEvPKT_S4_PS2_i.num_vgpr, 22
	.set _Z14LLGemm1_kernelIN3c104HalfELi4EEvPKT_S4_PS2_i.num_agpr, 0
	.set _Z14LLGemm1_kernelIN3c104HalfELi4EEvPKT_S4_PS2_i.numbered_sgpr, 16
	.set _Z14LLGemm1_kernelIN3c104HalfELi4EEvPKT_S4_PS2_i.num_named_barrier, 0
	.set _Z14LLGemm1_kernelIN3c104HalfELi4EEvPKT_S4_PS2_i.private_seg_size, 0
	.set _Z14LLGemm1_kernelIN3c104HalfELi4EEvPKT_S4_PS2_i.uses_vcc, 1
	.set _Z14LLGemm1_kernelIN3c104HalfELi4EEvPKT_S4_PS2_i.uses_flat_scratch, 0
	.set _Z14LLGemm1_kernelIN3c104HalfELi4EEvPKT_S4_PS2_i.has_dyn_sized_stack, 0
	.set _Z14LLGemm1_kernelIN3c104HalfELi4EEvPKT_S4_PS2_i.has_recursion, 0
	.set _Z14LLGemm1_kernelIN3c104HalfELi4EEvPKT_S4_PS2_i.has_indirect_call, 0
	.section	.AMDGPU.csdata,"",@progbits
; Kernel info:
; codeLenInByte = 1188
; TotalNumSgprs: 18
; NumVgprs: 22
; ScratchSize: 0
; MemoryBound: 0
; FloatMode: 240
; IeeeMode: 1
; LDSByteSize: 512 bytes/workgroup (compile time only)
; SGPRBlocks: 0
; VGPRBlocks: 2
; NumSGPRsForWavesPerEU: 18
; NumVGPRsForWavesPerEU: 22
; Occupancy: 16
; WaveLimiterHint : 0
; COMPUTE_PGM_RSRC2:SCRATCH_EN: 0
; COMPUTE_PGM_RSRC2:USER_SGPR: 6
; COMPUTE_PGM_RSRC2:TRAP_HANDLER: 0
; COMPUTE_PGM_RSRC2:TGID_X_EN: 1
; COMPUTE_PGM_RSRC2:TGID_Y_EN: 0
; COMPUTE_PGM_RSRC2:TGID_Z_EN: 0
; COMPUTE_PGM_RSRC2:TIDIG_COMP_CNT: 0
	.section	.text._Z14LLGemm1_kernelIN3c104HalfELi8EEvPKT_S4_PS2_i,"axG",@progbits,_Z14LLGemm1_kernelIN3c104HalfELi8EEvPKT_S4_PS2_i,comdat
	.protected	_Z14LLGemm1_kernelIN3c104HalfELi8EEvPKT_S4_PS2_i ; -- Begin function _Z14LLGemm1_kernelIN3c104HalfELi8EEvPKT_S4_PS2_i
	.globl	_Z14LLGemm1_kernelIN3c104HalfELi8EEvPKT_S4_PS2_i
	.p2align	8
	.type	_Z14LLGemm1_kernelIN3c104HalfELi8EEvPKT_S4_PS2_i,@function
_Z14LLGemm1_kernelIN3c104HalfELi8EEvPKT_S4_PS2_i: ; @_Z14LLGemm1_kernelIN3c104HalfELi8EEvPKT_S4_PS2_i
; %bb.0:
	s_clause 0x2
	s_load_dword s0, s[4:5], 0x18
	s_load_dwordx4 s[8:11], s[4:5], 0x0
	s_load_dwordx2 s[2:3], s[4:5], 0x10
	v_lshlrev_b32_e32 v37, 3, v0
                                        ; implicit-def: $vgpr4
                                        ; implicit-def: $vgpr8
                                        ; implicit-def: $vgpr16
                                        ; implicit-def: $vgpr20
                                        ; implicit-def: $vgpr12
                                        ; implicit-def: $vgpr24
                                        ; implicit-def: $vgpr32
                                        ; implicit-def: $vgpr36
                                        ; implicit-def: $vgpr28
	s_waitcnt lgkmcnt(0)
	v_cmp_gt_i32_e32 vcc_lo, s0, v37
	s_and_saveexec_b32 s1, vcc_lo
	s_cbranch_execz .LBB2_2
; %bb.1:
	s_mul_i32 s7, s6, s0
	v_mov_b32_e32 v2, 0
	s_and_b32 s7, s7, 0x1fffffff
	s_lshr_b32 s12, s0, 3
	v_add_nc_u32_e32 v1, s7, v0
	s_mov_b32 s13, 0
	v_lshlrev_b32_e32 v25, 4, v0
	s_lshl_b64 s[14:15], s[12:13], 4
	v_lshlrev_b64 v[3:4], 4, v[1:2]
	v_add3_u32 v1, s12, s12, v1
	v_lshlrev_b64 v[5:6], 4, v[1:2]
	v_add_nc_u32_e32 v1, s12, v1
	v_add_co_u32 v3, s0, s8, v3
	v_add_co_ci_u32_e64 v4, null, s9, v4, s0
	v_lshlrev_b64 v[7:8], 4, v[1:2]
	v_add_nc_u32_e32 v1, s12, v1
	v_add_co_u32 v9, s0, v3, s14
	v_add_co_ci_u32_e64 v10, null, s15, v4, s0
	v_add_co_u32 v5, s0, s8, v5
	v_lshlrev_b64 v[13:14], 4, v[1:2]
	v_add_nc_u32_e32 v1, s12, v1
	v_add_co_ci_u32_e64 v6, null, s9, v6, s0
	v_add_co_u32 v7, s0, s8, v7
	v_add_co_ci_u32_e64 v8, null, s9, v8, s0
	s_clause 0x3
	global_load_dwordx4 v[33:36], v[3:4], off slc
	global_load_dwordx4 v[29:32], v[9:10], off slc
	;; [unrolled: 1-line block ×4, first 2 shown]
	v_lshlrev_b64 v[3:4], 4, v[1:2]
	v_add_nc_u32_e32 v1, s12, v1
	v_add_co_u32 v5, s0, s8, v13
	v_add_co_ci_u32_e64 v6, null, s9, v14, s0
	v_lshlrev_b64 v[7:8], 4, v[1:2]
	v_add_nc_u32_e32 v1, s12, v1
	v_add_co_u32 v3, s0, s8, v3
	v_add_co_ci_u32_e64 v4, null, s9, v4, s0
	v_lshlrev_b64 v[1:2], 4, v[1:2]
	v_add_co_u32 v7, s0, s8, v7
	v_add_co_ci_u32_e64 v8, null, s9, v8, s0
	v_add_co_u32 v1, s0, s8, v1
	v_add_co_ci_u32_e64 v2, null, s9, v2, s0
	s_clause 0x3
	global_load_dwordx4 v[17:20], v[5:6], off slc
	global_load_dwordx4 v[13:16], v[3:4], off slc
	;; [unrolled: 1-line block ×4, first 2 shown]
	global_load_dwordx4 v[25:28], v25, s[10:11]
.LBB2_2:
	s_or_b32 exec_lo, exec_lo, s1
	s_waitcnt vmcnt(0)
	v_pk_mul_f16 v9, v25, v9
	v_pk_mul_f16 v33, v25, v33
	;; [unrolled: 1-line block ×5, first 2 shown]
	v_pk_fma_f16 v9, v10, v26, v9
	v_pk_mul_f16 v5, v25, v5
	v_pk_mul_f16 v1, v25, v1
	v_pk_fma_f16 v33, v34, v26, v33
	v_pk_fma_f16 v29, v30, v26, v29
	;; [unrolled: 1-line block ×3, first 2 shown]
	v_pk_mul_f16 v11, v25, v13
	v_pk_fma_f16 v21, v22, v26, v21
	v_pk_fma_f16 v5, v6, v26, v5
	;; [unrolled: 1-line block ×10, first 2 shown]
	v_cvt_f32_f16_e32 v18, v9
	v_cvt_f32_f16_sdwa v9, v9 dst_sel:DWORD dst_unused:UNUSED_PAD src0_sel:WORD_1
	v_pk_fma_f16 v12, v19, v27, v12
	v_pk_fma_f16 v5, v7, v27, v5
	;; [unrolled: 1-line block ×4, first 2 shown]
	v_mbcnt_lo_u32_b32 v7, -1, 0
	v_pk_fma_f16 v22, v36, v28, v22
	v_pk_fma_f16 v23, v32, v28, v29
	;; [unrolled: 1-line block ×3, first 2 shown]
	v_add_f32_e32 v9, v18, v9
	v_pk_fma_f16 v12, v20, v28, v12
	v_pk_fma_f16 v5, v8, v28, v5
	v_cvt_f32_f16_e32 v8, v6
	v_pk_fma_f16 v1, v4, v28, v1
	v_cvt_f32_f16_sdwa v4, v6 dst_sel:DWORD dst_unused:UNUSED_PAD src0_sel:WORD_1
	v_xor_b32_e32 v6, 16, v7
	v_cvt_f32_f16_e32 v21, v22
	v_cvt_f32_f16_sdwa v22, v22 dst_sel:DWORD dst_unused:UNUSED_PAD src0_sel:WORD_1
	v_cvt_f32_f16_e32 v24, v23
	v_cvt_f32_f16_sdwa v23, v23 dst_sel:DWORD dst_unused:UNUSED_PAD src0_sel:WORD_1
	;; [unrolled: 2-line block ×3, first 2 shown]
	v_cndmask_b32_e32 v2, 0, v9, vcc_lo
	v_cvt_f32_f16_e32 v9, v12
	v_cvt_f32_f16_sdwa v3, v12 dst_sel:DWORD dst_unused:UNUSED_PAD src0_sel:WORD_1
	v_cvt_f32_f16_e32 v11, v5
	v_cvt_f32_f16_sdwa v5, v5 dst_sel:DWORD dst_unused:UNUSED_PAD src0_sel:WORD_1
	;; [unrolled: 2-line block ×3, first 2 shown]
	v_cmp_gt_i32_e64 s0, 32, v6
	v_add_f32_e32 v13, v21, v22
	v_add_f32_e32 v21, v24, v23
	;; [unrolled: 1-line block ×4, first 2 shown]
	v_cndmask_b32_e64 v6, v7, v6, s0
	v_add_f32_e32 v4, v8, v4
	v_add_f32_e32 v5, v11, v5
	;; [unrolled: 1-line block ×3, first 2 shown]
	v_cndmask_b32_e32 v13, 0, v13, vcc_lo
	v_cndmask_b32_e32 v17, 0, v21, vcc_lo
	;; [unrolled: 1-line block ×3, first 2 shown]
	v_lshlrev_b32_e32 v1, 2, v6
	v_cndmask_b32_e32 v3, 0, v3, vcc_lo
	v_cndmask_b32_e32 v4, 0, v4, vcc_lo
	;; [unrolled: 1-line block ×4, first 2 shown]
	ds_bpermute_b32 v8, v1, v13
	ds_bpermute_b32 v9, v1, v17
	;; [unrolled: 1-line block ×8, first 2 shown]
	v_xor_b32_e32 v19, 8, v7
	v_xor_b32_e32 v20, 4, v7
	;; [unrolled: 1-line block ×3, first 2 shown]
	s_mov_b32 s0, exec_lo
	v_cmp_gt_i32_e32 vcc_lo, 32, v19
	v_cndmask_b32_e32 v19, v7, v19, vcc_lo
	v_cmp_gt_i32_e32 vcc_lo, 32, v20
	s_waitcnt lgkmcnt(7)
	v_add_f32_e32 v8, v13, v8
	s_waitcnt lgkmcnt(6)
	v_add_f32_e32 v9, v17, v9
	;; [unrolled: 2-line block ×4, first 2 shown]
	v_lshlrev_b32_e32 v2, 2, v19
	s_waitcnt lgkmcnt(3)
	v_add_f32_e32 v12, v3, v14
	s_waitcnt lgkmcnt(2)
	v_add_f32_e32 v4, v4, v15
	;; [unrolled: 2-line block ×4, first 2 shown]
	ds_bpermute_b32 v3, v2, v8
	ds_bpermute_b32 v13, v2, v9
	;; [unrolled: 1-line block ×8, first 2 shown]
	v_cndmask_b32_e32 v20, v7, v20, vcc_lo
	v_cmp_gt_i32_e32 vcc_lo, 32, v21
	v_cndmask_b32_e32 v21, v7, v21, vcc_lo
	s_waitcnt lgkmcnt(7)
	v_add_f32_e32 v8, v8, v3
	s_waitcnt lgkmcnt(6)
	v_add_f32_e32 v9, v9, v13
	s_waitcnt lgkmcnt(5)
	v_add_f32_e32 v10, v10, v14
	s_waitcnt lgkmcnt(4)
	v_add_f32_e32 v11, v11, v15
	v_lshlrev_b32_e32 v3, 2, v20
	s_waitcnt lgkmcnt(3)
	v_add_f32_e32 v12, v12, v16
	s_waitcnt lgkmcnt(2)
	v_add_f32_e32 v13, v4, v17
	;; [unrolled: 2-line block ×4, first 2 shown]
	ds_bpermute_b32 v4, v3, v8
	ds_bpermute_b32 v14, v3, v9
	;; [unrolled: 1-line block ×8, first 2 shown]
	s_waitcnt lgkmcnt(7)
	v_add_f32_e32 v8, v8, v4
	s_waitcnt lgkmcnt(6)
	v_add_f32_e32 v9, v9, v14
	;; [unrolled: 2-line block ×4, first 2 shown]
	v_lshlrev_b32_e32 v4, 2, v21
	s_waitcnt lgkmcnt(3)
	v_add_f32_e32 v14, v12, v17
	s_waitcnt lgkmcnt(2)
	v_add_f32_e32 v13, v13, v18
	;; [unrolled: 2-line block ×4, first 2 shown]
	ds_bpermute_b32 v6, v4, v8
	ds_bpermute_b32 v12, v4, v9
	;; [unrolled: 1-line block ×8, first 2 shown]
	v_xor_b32_e32 v17, 1, v7
	v_cmp_gt_i32_e32 vcc_lo, 32, v17
	v_cndmask_b32_e32 v7, v7, v17, vcc_lo
	s_waitcnt lgkmcnt(7)
	v_add_f32_e32 v17, v8, v6
	s_waitcnt lgkmcnt(6)
	v_add_f32_e32 v18, v9, v12
	;; [unrolled: 2-line block ×4, first 2 shown]
	v_lshlrev_b32_e32 v6, 2, v7
	s_waitcnt lgkmcnt(3)
	v_add_f32_e32 v11, v14, v21
	s_waitcnt lgkmcnt(2)
	v_add_f32_e32 v10, v13, v22
	;; [unrolled: 2-line block ×4, first 2 shown]
	ds_bpermute_b32 v21, v6, v17
	ds_bpermute_b32 v22, v6, v18
	;; [unrolled: 1-line block ×8, first 2 shown]
	v_and_b32_e32 v7, 31, v0
	v_lshrrev_b32_e32 v5, 5, v0
	v_cmpx_gt_u32_e32 8, v7
	s_cbranch_execz .LBB2_4
; %bb.3:
	s_waitcnt lgkmcnt(7)
	v_add_f32_e32 v17, v17, v21
	s_waitcnt lgkmcnt(6)
	v_add_f32_e32 v18, v18, v22
	v_cmp_eq_u32_e32 vcc_lo, 1, v7
	s_waitcnt lgkmcnt(5)
	v_add_f32_e32 v19, v19, v23
	s_waitcnt lgkmcnt(4)
	v_add_f32_e32 v12, v12, v20
	;; [unrolled: 2-line block ×4, first 2 shown]
	v_cndmask_b32_e32 v17, v17, v18, vcc_lo
	v_cmp_eq_u32_e32 vcc_lo, 2, v7
	s_waitcnt lgkmcnt(1)
	v_add_f32_e32 v9, v9, v14
	s_waitcnt lgkmcnt(0)
	v_add_f32_e32 v8, v8, v13
	v_cndmask_b32_e32 v17, v17, v19, vcc_lo
	v_cmp_eq_u32_e32 vcc_lo, 3, v7
	v_cndmask_b32_e32 v12, v17, v12, vcc_lo
	v_cmp_eq_u32_e32 vcc_lo, 4, v7
	;; [unrolled: 2-line block ×4, first 2 shown]
	v_lshlrev_b32_e32 v11, 2, v5
	v_cndmask_b32_e32 v9, v10, v9, vcc_lo
	v_cmp_eq_u32_e32 vcc_lo, 7, v7
	v_lshl_or_b32 v10, v7, 7, v11
	v_cndmask_b32_e32 v8, v9, v8, vcc_lo
	ds_write_b32 v10, v8
.LBB2_4:
	s_or_b32 exec_lo, exec_lo, s0
	s_waitcnt lgkmcnt(0)
	s_barrier
	buffer_gl0_inv
	s_mov_b32 s0, exec_lo
	v_cmpx_gt_u32_e32 0x80, v0
	s_cbranch_execz .LBB2_9
; %bb.5:
	s_load_dword s0, s[4:5], 0x2c
	v_and_b32_e32 v8, 15, v0
	v_mov_b32_e32 v0, 0
	s_waitcnt lgkmcnt(0)
	s_and_b32 s0, 0xffff, s0
	s_lshr_b32 s0, s0, 5
	v_cmp_gt_u32_e32 vcc_lo, s0, v8
	s_and_saveexec_b32 s0, vcc_lo
; %bb.6:
	v_lshlrev_b32_e32 v0, 2, v8
	v_and_or_b32 v0, 0x1f80, v37, v0
	ds_read_b32 v0, v0
; %bb.7:
	s_or_b32 exec_lo, exec_lo, s0
	s_waitcnt lgkmcnt(0)
	ds_bpermute_b32 v2, v2, v0
	v_cmp_eq_u32_e32 vcc_lo, 0, v7
	s_waitcnt lgkmcnt(0)
	v_add_f32_e32 v0, v0, v2
	ds_bpermute_b32 v2, v3, v0
	s_waitcnt lgkmcnt(0)
	v_add_f32_e32 v0, v0, v2
	ds_bpermute_b32 v2, v4, v0
	;; [unrolled: 3-line block ×4, first 2 shown]
	s_and_b32 exec_lo, exec_lo, vcc_lo
	s_cbranch_execz .LBB2_9
; %bb.8:
	s_lshl_b32 s0, s6, 2
	v_mov_b32_e32 v3, 0
	v_and_or_b32 v2, 0x7ffffffc, s0, v5
	v_cvt_f16_f32_e32 v4, v0
	s_waitcnt lgkmcnt(0)
	v_cvt_f16_f32_e32 v5, v1
	v_lshlrev_b64 v[0:1], 2, v[2:3]
	v_pack_b32_f16 v2, v4, v5
	v_add_co_u32 v0, vcc_lo, s2, v0
	v_add_co_ci_u32_e64 v1, null, s3, v1, vcc_lo
	global_store_dword v[0:1], v2, off
.LBB2_9:
	s_endpgm
	.section	.rodata,"a",@progbits
	.p2align	6, 0x0
	.amdhsa_kernel _Z14LLGemm1_kernelIN3c104HalfELi8EEvPKT_S4_PS2_i
		.amdhsa_group_segment_fixed_size 1024
		.amdhsa_private_segment_fixed_size 0
		.amdhsa_kernarg_size 288
		.amdhsa_user_sgpr_count 6
		.amdhsa_user_sgpr_private_segment_buffer 1
		.amdhsa_user_sgpr_dispatch_ptr 0
		.amdhsa_user_sgpr_queue_ptr 0
		.amdhsa_user_sgpr_kernarg_segment_ptr 1
		.amdhsa_user_sgpr_dispatch_id 0
		.amdhsa_user_sgpr_flat_scratch_init 0
		.amdhsa_user_sgpr_private_segment_size 0
		.amdhsa_wavefront_size32 1
		.amdhsa_uses_dynamic_stack 0
		.amdhsa_system_sgpr_private_segment_wavefront_offset 0
		.amdhsa_system_sgpr_workgroup_id_x 1
		.amdhsa_system_sgpr_workgroup_id_y 0
		.amdhsa_system_sgpr_workgroup_id_z 0
		.amdhsa_system_sgpr_workgroup_info 0
		.amdhsa_system_vgpr_workitem_id 0
		.amdhsa_next_free_vgpr 38
		.amdhsa_next_free_sgpr 16
		.amdhsa_reserve_vcc 1
		.amdhsa_reserve_flat_scratch 0
		.amdhsa_float_round_mode_32 0
		.amdhsa_float_round_mode_16_64 0
		.amdhsa_float_denorm_mode_32 3
		.amdhsa_float_denorm_mode_16_64 3
		.amdhsa_dx10_clamp 1
		.amdhsa_ieee_mode 1
		.amdhsa_fp16_overflow 0
		.amdhsa_workgroup_processor_mode 1
		.amdhsa_memory_ordered 1
		.amdhsa_forward_progress 1
		.amdhsa_shared_vgpr_count 0
		.amdhsa_exception_fp_ieee_invalid_op 0
		.amdhsa_exception_fp_denorm_src 0
		.amdhsa_exception_fp_ieee_div_zero 0
		.amdhsa_exception_fp_ieee_overflow 0
		.amdhsa_exception_fp_ieee_underflow 0
		.amdhsa_exception_fp_ieee_inexact 0
		.amdhsa_exception_int_div_zero 0
	.end_amdhsa_kernel
	.section	.text._Z14LLGemm1_kernelIN3c104HalfELi8EEvPKT_S4_PS2_i,"axG",@progbits,_Z14LLGemm1_kernelIN3c104HalfELi8EEvPKT_S4_PS2_i,comdat
.Lfunc_end2:
	.size	_Z14LLGemm1_kernelIN3c104HalfELi8EEvPKT_S4_PS2_i, .Lfunc_end2-_Z14LLGemm1_kernelIN3c104HalfELi8EEvPKT_S4_PS2_i
                                        ; -- End function
	.set _Z14LLGemm1_kernelIN3c104HalfELi8EEvPKT_S4_PS2_i.num_vgpr, 38
	.set _Z14LLGemm1_kernelIN3c104HalfELi8EEvPKT_S4_PS2_i.num_agpr, 0
	.set _Z14LLGemm1_kernelIN3c104HalfELi8EEvPKT_S4_PS2_i.numbered_sgpr, 16
	.set _Z14LLGemm1_kernelIN3c104HalfELi8EEvPKT_S4_PS2_i.num_named_barrier, 0
	.set _Z14LLGemm1_kernelIN3c104HalfELi8EEvPKT_S4_PS2_i.private_seg_size, 0
	.set _Z14LLGemm1_kernelIN3c104HalfELi8EEvPKT_S4_PS2_i.uses_vcc, 1
	.set _Z14LLGemm1_kernelIN3c104HalfELi8EEvPKT_S4_PS2_i.uses_flat_scratch, 0
	.set _Z14LLGemm1_kernelIN3c104HalfELi8EEvPKT_S4_PS2_i.has_dyn_sized_stack, 0
	.set _Z14LLGemm1_kernelIN3c104HalfELi8EEvPKT_S4_PS2_i.has_recursion, 0
	.set _Z14LLGemm1_kernelIN3c104HalfELi8EEvPKT_S4_PS2_i.has_indirect_call, 0
	.section	.AMDGPU.csdata,"",@progbits
; Kernel info:
; codeLenInByte = 1900
; TotalNumSgprs: 18
; NumVgprs: 38
; ScratchSize: 0
; MemoryBound: 0
; FloatMode: 240
; IeeeMode: 1
; LDSByteSize: 1024 bytes/workgroup (compile time only)
; SGPRBlocks: 0
; VGPRBlocks: 4
; NumSGPRsForWavesPerEU: 18
; NumVGPRsForWavesPerEU: 38
; Occupancy: 16
; WaveLimiterHint : 0
; COMPUTE_PGM_RSRC2:SCRATCH_EN: 0
; COMPUTE_PGM_RSRC2:USER_SGPR: 6
; COMPUTE_PGM_RSRC2:TRAP_HANDLER: 0
; COMPUTE_PGM_RSRC2:TGID_X_EN: 1
; COMPUTE_PGM_RSRC2:TGID_Y_EN: 0
; COMPUTE_PGM_RSRC2:TGID_Z_EN: 0
; COMPUTE_PGM_RSRC2:TIDIG_COMP_CNT: 0
	.section	.text._Z14LLGemm1_kernelIN3c104HalfELi16EEvPKT_S4_PS2_i,"axG",@progbits,_Z14LLGemm1_kernelIN3c104HalfELi16EEvPKT_S4_PS2_i,comdat
	.protected	_Z14LLGemm1_kernelIN3c104HalfELi16EEvPKT_S4_PS2_i ; -- Begin function _Z14LLGemm1_kernelIN3c104HalfELi16EEvPKT_S4_PS2_i
	.globl	_Z14LLGemm1_kernelIN3c104HalfELi16EEvPKT_S4_PS2_i
	.p2align	8
	.type	_Z14LLGemm1_kernelIN3c104HalfELi16EEvPKT_S4_PS2_i,@function
_Z14LLGemm1_kernelIN3c104HalfELi16EEvPKT_S4_PS2_i: ; @_Z14LLGemm1_kernelIN3c104HalfELi16EEvPKT_S4_PS2_i
; %bb.0:
	s_clause 0x2
	s_load_dword s7, s[4:5], 0x18
	s_load_dwordx4 s[8:11], s[4:5], 0x0
	s_load_dwordx2 s[2:3], s[4:5], 0x10
	v_lshlrev_b32_e32 v69, 3, v0
                                        ; implicit-def: $vgpr4
                                        ; implicit-def: $vgpr8
                                        ; implicit-def: $vgpr20
                                        ; implicit-def: $vgpr32
                                        ; implicit-def: $vgpr52
                                        ; implicit-def: $vgpr60
                                        ; implicit-def: $vgpr64
                                        ; implicit-def: $vgpr68
                                        ; implicit-def: $vgpr12
                                        ; implicit-def: $vgpr28
                                        ; implicit-def: $vgpr44
                                        ; implicit-def: $vgpr56
                                        ; implicit-def: $vgpr16
                                        ; implicit-def: $vgpr24
                                        ; implicit-def: $vgpr36
                                        ; implicit-def: $vgpr40
                                        ; implicit-def: $vgpr48
	s_waitcnt lgkmcnt(0)
	v_cmp_gt_i32_e32 vcc_lo, s7, v69
	s_and_saveexec_b32 s1, vcc_lo
	s_cbranch_execz .LBB3_2
; %bb.1:
	s_mul_i32 s0, s6, s7
	v_mov_b32_e32 v2, 0
	s_lshl_b32 s0, s0, 1
	s_lshr_b32 s12, s7, 3
	s_and_b32 s0, s0, 0x1ffffffe
	s_mov_b32 s13, 0
	v_add_nc_u32_e32 v1, s0, v0
	v_mov_b32_e32 v4, v2
	v_mov_b32_e32 v8, v2
	s_lshl_b64 s[14:15], s[12:13], 4
	v_mov_b32_e32 v14, v2
	v_add3_u32 v3, s12, s12, v1
	v_lshlrev_b64 v[5:6], 4, v[1:2]
	v_mov_b32_e32 v18, v2
	s_and_b32 s7, s7, -8
	v_lshlrev_b32_e32 v70, 4, v0
	v_add_nc_u32_e32 v7, s12, v3
	v_lshlrev_b64 v[9:10], 4, v[3:4]
	v_add_co_u32 v3, s0, s8, v5
	v_add_co_ci_u32_e64 v4, null, s9, v6, s0
	v_add_nc_u32_e32 v13, s12, v7
	v_lshlrev_b64 v[5:6], 4, v[7:8]
	v_add_co_u32 v11, s0, v3, s14
	v_add_co_ci_u32_e64 v12, null, s15, v4, s0
	v_add_co_u32 v8, s0, s8, v9
	v_add_nc_u32_e32 v17, s12, v13
	v_add_co_ci_u32_e64 v9, null, s9, v10, s0
	v_add_co_u32 v5, s0, s8, v5
	v_add_co_ci_u32_e64 v6, null, s9, v6, s0
	v_add_nc_u32_e32 v7, s12, v17
	s_clause 0x1
	global_load_dwordx4 v[37:40], v[3:4], off slc
	global_load_dwordx4 v[33:36], v[11:12], off slc
	v_lshlrev_b64 v[3:4], 4, v[13:14]
	s_clause 0x1
	global_load_dwordx4 v[21:24], v[8:9], off slc
	global_load_dwordx4 v[13:16], v[5:6], off slc
	v_mov_b32_e32 v8, v2
	v_add_nc_u32_e32 v10, s12, v7
	v_mov_b32_e32 v11, v2
	v_lshlrev_b64 v[5:6], 4, v[17:18]
	v_add_co_u32 v3, s0, s8, v3
	v_lshlrev_b64 v[8:9], 4, v[7:8]
	v_lshlrev_b64 v[11:12], 4, v[10:11]
	v_add_nc_u32_e32 v1, s7, v1
	v_add_co_ci_u32_e64 v4, null, s9, v4, s0
	v_add_co_u32 v5, s0, s8, v5
	v_add_co_ci_u32_e64 v6, null, s9, v6, s0
	v_add_co_u32 v7, s0, s8, v8
	v_lshlrev_b64 v[17:18], 4, v[1:2]
	v_lshl_add_u32 v1, s12, 1, v10
	v_add_co_ci_u32_e64 v8, null, s9, v9, s0
	v_add_co_u32 v11, s0, s8, v11
	v_add_co_ci_u32_e64 v12, null, s9, v12, s0
	s_clause 0x3
	global_load_dwordx4 v[53:56], v[3:4], off slc
	global_load_dwordx4 v[41:44], v[5:6], off slc
	;; [unrolled: 1-line block ×4, first 2 shown]
	v_lshlrev_b64 v[3:4], 4, v[1:2]
	v_add_nc_u32_e32 v1, s12, v1
	v_add_co_u32 v5, s0, s8, v17
	v_add_co_ci_u32_e64 v6, null, s9, v18, s0
	v_lshlrev_b64 v[7:8], 4, v[1:2]
	v_add_nc_u32_e32 v1, s12, v1
	v_add_co_u32 v3, s0, s8, v3
	v_add_co_ci_u32_e64 v4, null, s9, v4, s0
	;; [unrolled: 4-line block ×6, first 2 shown]
	v_lshlrev_b64 v[1:2], 4, v[1:2]
	v_add_co_u32 v47, s0, s8, v31
	v_add_co_ci_u32_e64 v48, null, s9, v32, s0
	s_clause 0x1
	global_load_dwordx4 v[65:68], v[5:6], off slc
	global_load_dwordx4 v[61:64], v[3:4], off slc
	v_add_co_u32 v1, s0, s8, v1
	v_add_co_ci_u32_e64 v2, null, s9, v2, s0
	s_clause 0x5
	global_load_dwordx4 v[57:60], v[7:8], off slc
	global_load_dwordx4 v[49:52], v[17:18], off slc
	global_load_dwordx4 v[29:32], v[19:20], off slc
	global_load_dwordx4 v[17:20], v[45:46], off slc
	global_load_dwordx4 v[5:8], v[47:48], off slc
	global_load_dwordx4 v[1:4], v[1:2], off slc
	global_load_dwordx4 v[45:48], v70, s[10:11]
.LBB3_2:
	s_or_b32 exec_lo, exec_lo, s1
	s_waitcnt vmcnt(0)
	v_pk_mul_f16 v37, v45, v37
	v_pk_mul_f16 v33, v45, v33
	;; [unrolled: 1-line block ×5, first 2 shown]
	v_pk_fma_f16 v37, v38, v46, v37
	v_pk_fma_f16 v33, v34, v46, v33
	v_pk_fma_f16 v21, v22, v46, v21
	v_pk_fma_f16 v13, v14, v46, v13
	v_pk_mul_f16 v34, v45, v53
	v_pk_fma_f16 v22, v39, v47, v37
	v_pk_fma_f16 v33, v35, v47, v33
	v_pk_mul_f16 v35, v45, v41
	v_pk_fma_f16 v21, v23, v47, v21
	v_pk_fma_f16 v13, v15, v47, v13
	;; [unrolled: 1-line block ×7, first 2 shown]
	v_cvt_f32_f16_e32 v24, v22
	v_cvt_f32_f16_sdwa v22, v22 dst_sel:DWORD dst_unused:UNUSED_PAD src0_sel:WORD_1
	v_pk_fma_f16 v16, v42, v46, v35
	v_pk_fma_f16 v9, v11, v47, v9
	v_pk_mul_f16 v11, v45, v65
	v_pk_mul_f16 v17, v45, v17
	v_add_f32_e32 v15, v24, v22
	v_pk_mul_f16 v24, v45, v25
	v_pk_fma_f16 v16, v43, v47, v16
	v_pk_fma_f16 v22, v55, v47, v23
	v_cvt_f32_f16_e32 v23, v13
	v_cvt_f32_f16_sdwa v13, v13 dst_sel:DWORD dst_unused:UNUSED_PAD src0_sel:WORD_1
	v_pk_fma_f16 v24, v26, v46, v24
	v_pk_fma_f16 v16, v44, v48, v16
	;; [unrolled: 1-line block ×4, first 2 shown]
	v_add_f32_e32 v13, v23, v13
	v_pk_fma_f16 v23, v27, v47, v24
	v_cvt_f32_f16_e32 v24, v16
	v_cvt_f32_f16_sdwa v16, v16 dst_sel:DWORD dst_unused:UNUSED_PAD src0_sel:WORD_1
	v_pk_fma_f16 v22, v56, v48, v22
	v_cndmask_b32_e32 v10, 0, v13, vcc_lo
	v_pk_fma_f16 v13, v28, v48, v23
	v_pk_fma_f16 v11, v67, v47, v11
	v_add_f32_e32 v16, v24, v16
	v_pk_mul_f16 v24, v45, v61
	v_cvt_f32_f16_e32 v25, v22
	v_cvt_f32_f16_e32 v23, v13
	v_cvt_f32_f16_sdwa v13, v13 dst_sel:DWORD dst_unused:UNUSED_PAD src0_sel:WORD_1
	v_cndmask_b32_e32 v12, 0, v16, vcc_lo
	v_pk_fma_f16 v16, v62, v46, v24
	v_pk_mul_f16 v24, v45, v57
	v_cvt_f32_f16_sdwa v22, v22 dst_sel:DWORD dst_unused:UNUSED_PAD src0_sel:WORD_1
	v_add_f32_e32 v13, v23, v13
	v_cvt_f32_f16_e32 v23, v9
	v_cvt_f32_f16_sdwa v9, v9 dst_sel:DWORD dst_unused:UNUSED_PAD src0_sel:WORD_1
	v_pk_fma_f16 v16, v63, v47, v16
	v_pk_fma_f16 v24, v58, v46, v24
	;; [unrolled: 1-line block ×3, first 2 shown]
	v_pk_mul_f16 v5, v45, v5
	v_add_f32_e32 v9, v23, v9
	v_pk_fma_f16 v16, v64, v48, v16
	v_pk_mul_f16 v23, v45, v49
	v_pk_fma_f16 v24, v59, v47, v24
	v_pk_fma_f16 v17, v18, v46, v17
	v_add_f32_e32 v22, v25, v22
	v_cvt_f32_f16_e32 v26, v16
	v_pk_fma_f16 v23, v50, v46, v23
	v_cvt_f32_f16_sdwa v16, v16 dst_sel:DWORD dst_unused:UNUSED_PAD src0_sel:WORD_1
	v_cvt_f32_f16_e32 v25, v11
	v_cvt_f32_f16_sdwa v11, v11 dst_sel:DWORD dst_unused:UNUSED_PAD src0_sel:WORD_1
	v_pk_fma_f16 v24, v60, v48, v24
	v_pk_fma_f16 v23, v51, v47, v23
	v_add_f32_e32 v16, v26, v16
	v_pk_mul_f16 v26, v45, v29
	v_pk_mul_f16 v1, v45, v1
	v_pk_fma_f16 v5, v6, v46, v5
	v_pk_fma_f16 v6, v19, v47, v17
	v_add_f32_e32 v11, v25, v11
	v_cvt_f32_f16_e32 v25, v24
	v_cvt_f32_f16_sdwa v24, v24 dst_sel:DWORD dst_unused:UNUSED_PAD src0_sel:WORD_1
	v_pk_fma_f16 v23, v52, v48, v23
	v_pk_fma_f16 v26, v30, v46, v26
	;; [unrolled: 1-line block ×5, first 2 shown]
	v_mbcnt_lo_u32_b32 v6, -1, 0
	v_pk_fma_f16 v14, v36, v48, v33
	v_add_f32_e32 v24, v25, v24
	v_cvt_f32_f16_e32 v25, v23
	v_cvt_f32_f16_sdwa v23, v23 dst_sel:DWORD dst_unused:UNUSED_PAD src0_sel:WORD_1
	v_pk_fma_f16 v26, v31, v47, v26
	v_pk_fma_f16 v2, v8, v48, v2
	v_xor_b32_e32 v8, 16, v6
	v_cvt_f32_f16_e32 v33, v14
	v_cvt_f32_f16_sdwa v14, v14 dst_sel:DWORD dst_unused:UNUSED_PAD src0_sel:WORD_1
	v_add_f32_e32 v18, v25, v23
	v_pk_fma_f16 v23, v32, v48, v26
	v_pk_fma_f16 v1, v3, v47, v1
	v_cmp_gt_i32_e64 s0, 32, v8
	v_cvt_f32_f16_e32 v34, v21
	v_cvt_f32_f16_sdwa v21, v21 dst_sel:DWORD dst_unused:UNUSED_PAD src0_sel:WORD_1
	v_add_f32_e32 v14, v33, v14
	v_cndmask_b32_e32 v17, 0, v18, vcc_lo
	v_cvt_f32_f16_e32 v18, v23
	v_cvt_f32_f16_sdwa v7, v23 dst_sel:DWORD dst_unused:UNUSED_PAD src0_sel:WORD_1
	v_pk_fma_f16 v1, v4, v48, v1
	v_cndmask_b32_e64 v8, v6, v8, s0
	v_add_f32_e32 v21, v34, v21
	v_cndmask_b32_e32 v15, 0, v15, vcc_lo
	v_cndmask_b32_e32 v14, 0, v14, vcc_lo
	v_cvt_f32_f16_e32 v3, v5
	v_cvt_f32_f16_sdwa v5, v5 dst_sel:DWORD dst_unused:UNUSED_PAD src0_sel:WORD_1
	v_cvt_f32_f16_e32 v4, v2
	v_cvt_f32_f16_sdwa v2, v2 dst_sel:DWORD dst_unused:UNUSED_PAD src0_sel:WORD_1
	;; [unrolled: 2-line block ×3, first 2 shown]
	v_add_f32_e32 v7, v18, v7
	v_lshlrev_b32_e32 v1, 2, v8
	v_cndmask_b32_e32 v21, 0, v21, vcc_lo
	v_add_f32_e32 v3, v3, v5
	v_add_f32_e32 v2, v4, v2
	v_cndmask_b32_e32 v5, 0, v7, vcc_lo
	ds_bpermute_b32 v7, v1, v15
	ds_bpermute_b32 v18, v1, v14
	v_add_f32_e32 v4, v19, v20
	v_cndmask_b32_e32 v8, 0, v2, vcc_lo
	ds_bpermute_b32 v19, v1, v21
	ds_bpermute_b32 v20, v1, v10
	v_xor_b32_e32 v2, 8, v6
	v_cndmask_b32_e32 v22, 0, v22, vcc_lo
	v_cndmask_b32_e32 v13, 0, v13, vcc_lo
	;; [unrolled: 1-line block ×8, first 2 shown]
	v_cmp_gt_i32_e32 vcc_lo, 32, v2
	ds_bpermute_b32 v23, v1, v22
	ds_bpermute_b32 v30, v1, v24
	ds_bpermute_b32 v25, v1, v12
	ds_bpermute_b32 v26, v1, v13
	v_cndmask_b32_e32 v2, v6, v2, vcc_lo
	ds_bpermute_b32 v29, v1, v16
	ds_bpermute_b32 v33, v1, v3
	s_waitcnt lgkmcnt(9)
	v_add_f32_e32 v7, v15, v7
	s_waitcnt lgkmcnt(8)
	v_add_f32_e32 v14, v14, v18
	v_lshlrev_b32_e32 v2, 2, v2
	ds_bpermute_b32 v32, v1, v5
	ds_bpermute_b32 v15, v1, v8
	s_waitcnt lgkmcnt(9)
	v_add_f32_e32 v18, v21, v19
	s_waitcnt lgkmcnt(8)
	v_add_f32_e32 v10, v10, v20
	ds_bpermute_b32 v20, v2, v7
	ds_bpermute_b32 v21, v2, v14
	;; [unrolled: 1-line block ×6, first 2 shown]
	s_waitcnt lgkmcnt(13)
	v_add_f32_e32 v19, v22, v23
	s_waitcnt lgkmcnt(12)
	v_add_f32_e32 v22, v24, v30
	ds_bpermute_b32 v24, v2, v10
	s_waitcnt lgkmcnt(12)
	v_add_f32_e32 v12, v12, v25
	s_waitcnt lgkmcnt(11)
	v_add_f32_e32 v13, v13, v26
	;; [unrolled: 2-line block ×4, first 2 shown]
	ds_bpermute_b32 v3, v2, v18
	ds_bpermute_b32 v25, v2, v19
	;; [unrolled: 1-line block ×3, first 2 shown]
	s_waitcnt lgkmcnt(11)
	v_add_f32_e32 v5, v5, v32
	s_waitcnt lgkmcnt(10)
	v_add_f32_e32 v8, v8, v15
	ds_bpermute_b32 v15, v2, v12
	v_xor_b32_e32 v29, 4, v6
	s_waitcnt lgkmcnt(10)
	v_add_f32_e32 v7, v7, v20
	s_waitcnt lgkmcnt(9)
	v_add_f32_e32 v14, v14, v21
	ds_bpermute_b32 v20, v2, v16
	ds_bpermute_b32 v21, v2, v22
	s_waitcnt lgkmcnt(10)
	v_add_f32_e32 v9, v9, v27
	s_waitcnt lgkmcnt(9)
	v_add_f32_e32 v17, v17, v31
	;; [unrolled: 2-line block ×3, first 2 shown]
	ds_bpermute_b32 v31, v2, v5
	v_cmp_gt_i32_e32 vcc_lo, 32, v29
	s_waitcnt lgkmcnt(8)
	v_add_f32_e32 v11, v11, v28
	ds_bpermute_b32 v27, v2, v9
	s_waitcnt lgkmcnt(8)
	v_add_f32_e32 v10, v10, v24
	ds_bpermute_b32 v24, v2, v4
	v_cndmask_b32_e32 v29, v6, v29, vcc_lo
	ds_bpermute_b32 v28, v2, v11
	ds_bpermute_b32 v30, v2, v17
	;; [unrolled: 1-line block ×4, first 2 shown]
	s_waitcnt lgkmcnt(12)
	v_add_f32_e32 v18, v18, v3
	s_waitcnt lgkmcnt(11)
	v_add_f32_e32 v19, v19, v25
	v_lshlrev_b32_e32 v3, 2, v29
	s_waitcnt lgkmcnt(9)
	v_add_f32_e32 v12, v12, v15
	v_add_f32_e32 v13, v13, v26
	s_waitcnt lgkmcnt(8)
	v_add_f32_e32 v16, v16, v20
	s_waitcnt lgkmcnt(7)
	v_add_f32_e32 v20, v22, v21
	ds_bpermute_b32 v15, v3, v7
	ds_bpermute_b32 v26, v3, v18
	;; [unrolled: 1-line block ×4, first 2 shown]
	s_waitcnt lgkmcnt(10)
	v_add_f32_e32 v5, v5, v31
	s_waitcnt lgkmcnt(9)
	v_add_f32_e32 v9, v9, v27
	ds_bpermute_b32 v27, v3, v12
	s_waitcnt lgkmcnt(9)
	v_add_f32_e32 v24, v4, v24
	v_xor_b32_e32 v4, 2, v6
	ds_bpermute_b32 v34, v3, v5
	s_waitcnt lgkmcnt(9)
	v_add_f32_e32 v11, v11, v28
	s_waitcnt lgkmcnt(8)
	v_add_f32_e32 v17, v17, v30
	;; [unrolled: 2-line block ×4, first 2 shown]
	v_cmp_gt_i32_e32 vcc_lo, 32, v4
	ds_bpermute_b32 v25, v3, v14
	ds_bpermute_b32 v28, v3, v13
	;; [unrolled: 1-line block ×7, first 2 shown]
	s_waitcnt lgkmcnt(12)
	v_add_f32_e32 v7, v7, v15
	s_waitcnt lgkmcnt(11)
	v_add_f32_e32 v15, v18, v26
	ds_bpermute_b32 v18, v3, v23
	s_waitcnt lgkmcnt(11)
	v_add_f32_e32 v10, v10, v21
	s_waitcnt lgkmcnt(10)
	v_add_f32_e32 v19, v19, v22
	ds_bpermute_b32 v21, v3, v8
	ds_bpermute_b32 v22, v3, v24
	v_cndmask_b32_e32 v4, v6, v4, vcc_lo
	s_waitcnt lgkmcnt(11)
	v_add_f32_e32 v12, v12, v27
	s_waitcnt lgkmcnt(10)
	v_add_f32_e32 v27, v5, v34
	s_mov_b32 s0, exec_lo
	v_lshlrev_b32_e32 v4, 2, v4
	s_waitcnt lgkmcnt(9)
	v_add_f32_e32 v14, v14, v25
	s_waitcnt lgkmcnt(8)
	v_add_f32_e32 v13, v13, v28
	;; [unrolled: 2-line block ×4, first 2 shown]
	ds_bpermute_b32 v5, v4, v7
	s_waitcnt lgkmcnt(6)
	v_add_f32_e32 v25, v16, v31
	s_waitcnt lgkmcnt(5)
	v_add_f32_e32 v20, v20, v32
	;; [unrolled: 2-line block ×3, first 2 shown]
	ds_bpermute_b32 v16, v4, v14
	s_waitcnt lgkmcnt(4)
	v_add_f32_e32 v18, v23, v18
	ds_bpermute_b32 v17, v4, v15
	ds_bpermute_b32 v28, v4, v10
	s_waitcnt lgkmcnt(5)
	v_add_f32_e32 v8, v8, v21
	s_waitcnt lgkmcnt(4)
	v_add_f32_e32 v24, v24, v22
	ds_bpermute_b32 v23, v4, v19
	ds_bpermute_b32 v29, v4, v12
	;; [unrolled: 1-line block ×12, first 2 shown]
	s_waitcnt lgkmcnt(15)
	v_add_f32_e32 v31, v7, v5
	v_xor_b32_e32 v5, 1, v6
	s_waitcnt lgkmcnt(14)
	v_add_f32_e32 v32, v14, v16
	v_and_b32_e32 v7, 31, v0
	s_waitcnt lgkmcnt(13)
	v_add_f32_e32 v33, v15, v17
	s_waitcnt lgkmcnt(12)
	v_add_f32_e32 v21, v10, v28
	v_cmp_gt_i32_e32 vcc_lo, 32, v5
	s_waitcnt lgkmcnt(11)
	v_add_f32_e32 v22, v19, v23
	s_waitcnt lgkmcnt(10)
	v_add_f32_e32 v19, v12, v29
	;; [unrolled: 2-line block ×3, first 2 shown]
	v_cndmask_b32_e32 v5, v6, v5, vcc_lo
	s_waitcnt lgkmcnt(8)
	v_add_f32_e32 v15, v9, v34
	s_waitcnt lgkmcnt(7)
	v_add_f32_e32 v16, v11, v35
	s_waitcnt lgkmcnt(6)
	v_add_f32_e32 v14, v25, v36
	s_waitcnt lgkmcnt(5)
	v_add_f32_e32 v13, v20, v37
	s_waitcnt lgkmcnt(4)
	v_add_f32_e32 v12, v26, v38
	v_lshlrev_b32_e32 v5, 2, v5
	s_waitcnt lgkmcnt(3)
	v_add_f32_e32 v11, v27, v39
	s_waitcnt lgkmcnt(2)
	v_add_f32_e32 v10, v18, v40
	;; [unrolled: 2-line block ×4, first 2 shown]
	ds_bpermute_b32 v37, v5, v31
	ds_bpermute_b32 v38, v5, v32
	;; [unrolled: 1-line block ×16, first 2 shown]
	v_lshrrev_b32_e32 v6, 5, v0
	v_cmpx_gt_u32_e32 16, v7
	s_cbranch_execz .LBB3_4
; %bb.3:
	s_waitcnt lgkmcnt(15)
	v_add_f32_e32 v31, v31, v37
	s_waitcnt lgkmcnt(14)
	v_add_f32_e32 v32, v32, v38
	v_cmp_eq_u32_e32 vcc_lo, 1, v7
	s_waitcnt lgkmcnt(13)
	v_add_f32_e32 v33, v33, v39
	s_waitcnt lgkmcnt(12)
	v_add_f32_e32 v21, v21, v36
	s_waitcnt lgkmcnt(11)
	v_add_f32_e32 v22, v22, v35
	s_waitcnt lgkmcnt(10)
	v_add_f32_e32 v19, v19, v34
	v_cndmask_b32_e32 v31, v31, v32, vcc_lo
	v_cmp_eq_u32_e32 vcc_lo, 2, v7
	s_waitcnt lgkmcnt(9)
	v_add_f32_e32 v17, v17, v30
	s_waitcnt lgkmcnt(8)
	v_add_f32_e32 v15, v15, v29
	s_waitcnt lgkmcnt(7)
	v_add_f32_e32 v16, v16, v28
	s_waitcnt lgkmcnt(6)
	v_add_f32_e32 v14, v14, v27
	v_cndmask_b32_e32 v31, v31, v33, vcc_lo
	;; [unrolled: 10-line block ×3, first 2 shown]
	v_cmp_eq_u32_e32 vcc_lo, 4, v7
	s_waitcnt lgkmcnt(1)
	v_add_f32_e32 v9, v9, v20
	s_waitcnt lgkmcnt(0)
	v_add_f32_e32 v8, v8, v18
	v_cndmask_b32_e32 v21, v21, v22, vcc_lo
	v_cmp_eq_u32_e32 vcc_lo, 5, v7
	v_cndmask_b32_e32 v19, v21, v19, vcc_lo
	v_cmp_eq_u32_e32 vcc_lo, 6, v7
	;; [unrolled: 2-line block ×10, first 2 shown]
	v_lshlrev_b32_e32 v11, 2, v6
	v_cndmask_b32_e32 v9, v10, v9, vcc_lo
	v_cmp_eq_u32_e32 vcc_lo, 15, v7
	v_lshl_or_b32 v10, v7, 7, v11
	v_cndmask_b32_e32 v8, v9, v8, vcc_lo
	ds_write_b32 v10, v8
.LBB3_4:
	s_or_b32 exec_lo, exec_lo, s0
	s_waitcnt lgkmcnt(0)
	s_barrier
	buffer_gl0_inv
	s_mov_b32 s0, exec_lo
	v_cmpx_gt_u32_e32 0x100, v0
	s_cbranch_execz .LBB3_9
; %bb.5:
	s_load_dword s0, s[4:5], 0x2c
	v_and_b32_e32 v8, 15, v0
	v_mov_b32_e32 v0, 0
	s_waitcnt lgkmcnt(0)
	s_and_b32 s0, 0xffff, s0
	s_lshr_b32 s0, s0, 5
	v_cmp_gt_u32_e32 vcc_lo, s0, v8
	s_and_saveexec_b32 s0, vcc_lo
; %bb.6:
	v_lshlrev_b32_e32 v0, 2, v8
	v_and_or_b32 v0, 0x1f80, v69, v0
	ds_read_b32 v0, v0
; %bb.7:
	s_or_b32 exec_lo, exec_lo, s0
	s_waitcnt lgkmcnt(0)
	ds_bpermute_b32 v2, v2, v0
	v_cmp_eq_u32_e32 vcc_lo, 0, v7
	s_waitcnt lgkmcnt(0)
	v_add_f32_e32 v0, v0, v2
	ds_bpermute_b32 v2, v3, v0
	s_waitcnt lgkmcnt(0)
	v_add_f32_e32 v0, v0, v2
	ds_bpermute_b32 v2, v4, v0
	;; [unrolled: 3-line block ×4, first 2 shown]
	s_and_b32 exec_lo, exec_lo, vcc_lo
	s_cbranch_execz .LBB3_9
; %bb.8:
	s_lshl_b32 s0, s6, 3
	v_mov_b32_e32 v3, 0
	v_and_or_b32 v2, 0x7ffffff8, s0, v6
	v_cvt_f16_f32_e32 v4, v0
	s_waitcnt lgkmcnt(0)
	v_cvt_f16_f32_e32 v5, v1
	v_lshlrev_b64 v[0:1], 2, v[2:3]
	v_pack_b32_f16 v2, v4, v5
	v_add_co_u32 v0, vcc_lo, s2, v0
	v_add_co_ci_u32_e64 v1, null, s3, v1, vcc_lo
	global_store_dword v[0:1], v2, off
.LBB3_9:
	s_endpgm
	.section	.rodata,"a",@progbits
	.p2align	6, 0x0
	.amdhsa_kernel _Z14LLGemm1_kernelIN3c104HalfELi16EEvPKT_S4_PS2_i
		.amdhsa_group_segment_fixed_size 2048
		.amdhsa_private_segment_fixed_size 0
		.amdhsa_kernarg_size 288
		.amdhsa_user_sgpr_count 6
		.amdhsa_user_sgpr_private_segment_buffer 1
		.amdhsa_user_sgpr_dispatch_ptr 0
		.amdhsa_user_sgpr_queue_ptr 0
		.amdhsa_user_sgpr_kernarg_segment_ptr 1
		.amdhsa_user_sgpr_dispatch_id 0
		.amdhsa_user_sgpr_flat_scratch_init 0
		.amdhsa_user_sgpr_private_segment_size 0
		.amdhsa_wavefront_size32 1
		.amdhsa_uses_dynamic_stack 0
		.amdhsa_system_sgpr_private_segment_wavefront_offset 0
		.amdhsa_system_sgpr_workgroup_id_x 1
		.amdhsa_system_sgpr_workgroup_id_y 0
		.amdhsa_system_sgpr_workgroup_id_z 0
		.amdhsa_system_sgpr_workgroup_info 0
		.amdhsa_system_vgpr_workitem_id 0
		.amdhsa_next_free_vgpr 71
		.amdhsa_next_free_sgpr 16
		.amdhsa_reserve_vcc 1
		.amdhsa_reserve_flat_scratch 0
		.amdhsa_float_round_mode_32 0
		.amdhsa_float_round_mode_16_64 0
		.amdhsa_float_denorm_mode_32 3
		.amdhsa_float_denorm_mode_16_64 3
		.amdhsa_dx10_clamp 1
		.amdhsa_ieee_mode 1
		.amdhsa_fp16_overflow 0
		.amdhsa_workgroup_processor_mode 1
		.amdhsa_memory_ordered 1
		.amdhsa_forward_progress 1
		.amdhsa_shared_vgpr_count 0
		.amdhsa_exception_fp_ieee_invalid_op 0
		.amdhsa_exception_fp_denorm_src 0
		.amdhsa_exception_fp_ieee_div_zero 0
		.amdhsa_exception_fp_ieee_overflow 0
		.amdhsa_exception_fp_ieee_underflow 0
		.amdhsa_exception_fp_ieee_inexact 0
		.amdhsa_exception_int_div_zero 0
	.end_amdhsa_kernel
	.section	.text._Z14LLGemm1_kernelIN3c104HalfELi16EEvPKT_S4_PS2_i,"axG",@progbits,_Z14LLGemm1_kernelIN3c104HalfELi16EEvPKT_S4_PS2_i,comdat
.Lfunc_end3:
	.size	_Z14LLGemm1_kernelIN3c104HalfELi16EEvPKT_S4_PS2_i, .Lfunc_end3-_Z14LLGemm1_kernelIN3c104HalfELi16EEvPKT_S4_PS2_i
                                        ; -- End function
	.set _Z14LLGemm1_kernelIN3c104HalfELi16EEvPKT_S4_PS2_i.num_vgpr, 71
	.set _Z14LLGemm1_kernelIN3c104HalfELi16EEvPKT_S4_PS2_i.num_agpr, 0
	.set _Z14LLGemm1_kernelIN3c104HalfELi16EEvPKT_S4_PS2_i.numbered_sgpr, 16
	.set _Z14LLGemm1_kernelIN3c104HalfELi16EEvPKT_S4_PS2_i.num_named_barrier, 0
	.set _Z14LLGemm1_kernelIN3c104HalfELi16EEvPKT_S4_PS2_i.private_seg_size, 0
	.set _Z14LLGemm1_kernelIN3c104HalfELi16EEvPKT_S4_PS2_i.uses_vcc, 1
	.set _Z14LLGemm1_kernelIN3c104HalfELi16EEvPKT_S4_PS2_i.uses_flat_scratch, 0
	.set _Z14LLGemm1_kernelIN3c104HalfELi16EEvPKT_S4_PS2_i.has_dyn_sized_stack, 0
	.set _Z14LLGemm1_kernelIN3c104HalfELi16EEvPKT_S4_PS2_i.has_recursion, 0
	.set _Z14LLGemm1_kernelIN3c104HalfELi16EEvPKT_S4_PS2_i.has_indirect_call, 0
	.section	.AMDGPU.csdata,"",@progbits
; Kernel info:
; codeLenInByte = 3352
; TotalNumSgprs: 18
; NumVgprs: 71
; ScratchSize: 0
; MemoryBound: 0
; FloatMode: 240
; IeeeMode: 1
; LDSByteSize: 2048 bytes/workgroup (compile time only)
; SGPRBlocks: 0
; VGPRBlocks: 8
; NumSGPRsForWavesPerEU: 18
; NumVGPRsForWavesPerEU: 71
; Occupancy: 12
; WaveLimiterHint : 0
; COMPUTE_PGM_RSRC2:SCRATCH_EN: 0
; COMPUTE_PGM_RSRC2:USER_SGPR: 6
; COMPUTE_PGM_RSRC2:TRAP_HANDLER: 0
; COMPUTE_PGM_RSRC2:TGID_X_EN: 1
; COMPUTE_PGM_RSRC2:TGID_Y_EN: 0
; COMPUTE_PGM_RSRC2:TGID_Z_EN: 0
; COMPUTE_PGM_RSRC2:TIDIG_COMP_CNT: 0
	.section	.text._Z14LLGemm1_kernelIN3c108BFloat16ELi2EEvPKT_S4_PS2_i,"axG",@progbits,_Z14LLGemm1_kernelIN3c108BFloat16ELi2EEvPKT_S4_PS2_i,comdat
	.protected	_Z14LLGemm1_kernelIN3c108BFloat16ELi2EEvPKT_S4_PS2_i ; -- Begin function _Z14LLGemm1_kernelIN3c108BFloat16ELi2EEvPKT_S4_PS2_i
	.globl	_Z14LLGemm1_kernelIN3c108BFloat16ELi2EEvPKT_S4_PS2_i
	.p2align	8
	.type	_Z14LLGemm1_kernelIN3c108BFloat16ELi2EEvPKT_S4_PS2_i,@function
_Z14LLGemm1_kernelIN3c108BFloat16ELi2EEvPKT_S4_PS2_i: ; @_Z14LLGemm1_kernelIN3c108BFloat16ELi2EEvPKT_S4_PS2_i
; %bb.0:
	s_clause 0x2
	s_load_dword s10, s[4:5], 0x18
	s_load_dwordx4 s[0:3], s[4:5], 0x0
	s_load_dwordx2 s[8:9], s[4:5], 0x10
	v_lshlrev_b32_e32 v13, 3, v0
                                        ; implicit-def: $vgpr14
                                        ; implicit-def: $vgpr4
                                        ; implicit-def: $vgpr16
                                        ; implicit-def: $vgpr18
                                        ; implicit-def: $vgpr19
                                        ; implicit-def: $vgpr15
                                        ; implicit-def: $vgpr12
                                        ; implicit-def: $vgpr17
                                        ; implicit-def: $vgpr20
                                        ; implicit-def: $vgpr21
                                        ; implicit-def: $vgpr8
	s_waitcnt lgkmcnt(0)
	v_cmp_gt_i32_e32 vcc_lo, s10, v13
	s_and_saveexec_b32 s7, vcc_lo
	s_cbranch_execz .LBB4_2
; %bb.1:
	s_mul_i32 s11, s6, s10
	v_mov_b32_e32 v2, 0
	s_bfe_u32 s11, s11, 0x1d0002
	s_lshr_b32 s10, s10, 3
	v_add_nc_u32_e32 v1, s11, v0
	s_mov_b32 s11, 0
	v_lshlrev_b32_e32 v5, 4, v0
	v_lshlrev_b64 v[1:2], 4, v[1:2]
	v_add_co_u32 v1, s0, s0, v1
	v_add_co_ci_u32_e64 v2, null, s1, v2, s0
	s_lshl_b64 s[0:1], s[10:11], 4
	v_add_co_u32 v3, s0, v1, s0
	v_add_co_ci_u32_e64 v4, null, s1, v2, s0
	s_clause 0x1
	global_load_dwordx4 v[9:12], v[1:2], off slc
	global_load_dwordx4 v[1:4], v[3:4], off slc
	global_load_dwordx4 v[5:8], v5, s[2:3]
	s_waitcnt vmcnt(2)
	v_lshrrev_b32_e32 v21, 16, v9
	v_lshrrev_b32_e32 v20, 16, v10
	;; [unrolled: 1-line block ×4, first 2 shown]
	s_waitcnt vmcnt(1)
	v_lshrrev_b32_e32 v19, 16, v1
	v_lshrrev_b32_e32 v18, 16, v2
	;; [unrolled: 1-line block ×4, first 2 shown]
.LBB4_2:
	s_or_b32 exec_lo, exec_lo, s7
	v_lshlrev_b32_e32 v9, 16, v9
	s_waitcnt vmcnt(0)
	v_lshlrev_b32_e32 v22, 16, v5
	v_and_b32_e32 v5, 0xffff0000, v5
	v_lshlrev_b32_e32 v21, 16, v21
	v_lshlrev_b32_e32 v10, 16, v10
	v_lshlrev_b32_e32 v23, 16, v6
	v_mul_f32_e32 v9, v22, v9
	v_lshlrev_b32_e32 v1, 16, v1
	v_mul_f32_e32 v21, v5, v21
	v_and_b32_e32 v6, 0xffff0000, v6
	v_lshlrev_b32_e32 v20, 16, v20
	v_bfe_u32 v24, v9, 16, 1
	v_or_b32_e32 v26, 0x400000, v9
	v_cmp_u_f32_e64 s0, v9, v9
	v_bfe_u32 v25, v21, 16, 1
	v_or_b32_e32 v28, 0x400000, v21
	v_add3_u32 v24, v24, v9, 0x7fff
	v_mul_f32_e32 v1, v22, v1
	v_lshlrev_b32_e32 v19, 16, v19
	v_add3_u32 v25, v25, v21, 0x7fff
	v_lshlrev_b32_e32 v11, 16, v11
	v_cndmask_b32_e64 v9, v24, v26, s0
	v_cmp_u_f32_e64 s0, v21, v21
	v_mul_f32_e32 v5, v5, v19
	v_or_b32_e32 v19, 0x400000, v1
	v_lshlrev_b32_e32 v27, 16, v7
	v_and_b32_e32 v9, 0xffff0000, v9
	v_cndmask_b32_e64 v21, v25, v28, s0
	v_or_b32_e32 v24, 0x400000, v5
	v_lshlrev_b32_e32 v2, 16, v2
	v_and_b32_e32 v7, 0xffff0000, v7
	v_fmac_f32_e32 v9, v10, v23
	v_and_b32_e32 v21, 0xffff0000, v21
	v_bfe_u32 v10, v1, 16, 1
	v_lshlrev_b32_e32 v17, 16, v17
	v_lshlrev_b32_e32 v3, 16, v3
	v_bfe_u32 v22, v9, 16, 1
	v_fmac_f32_e32 v21, v20, v6
	v_or_b32_e32 v26, 0x400000, v9
	v_cmp_u_f32_e64 s0, v9, v9
	v_add3_u32 v10, v10, v1, 0x7fff
	v_add3_u32 v22, v22, v9, 0x7fff
	v_bfe_u32 v25, v21, 16, 1
	v_bfe_u32 v20, v5, 16, 1
	v_or_b32_e32 v28, 0x400000, v21
	v_lshlrev_b32_e32 v4, 16, v4
	v_cndmask_b32_e64 v9, v22, v26, s0
	v_cmp_u_f32_e64 s0, v1, v1
	v_add3_u32 v25, v25, v21, 0x7fff
	v_add3_u32 v20, v20, v5, 0x7fff
	v_and_b32_e32 v9, 0xffff0000, v9
	v_cndmask_b32_e64 v1, v10, v19, s0
	v_cmp_u_f32_e64 s0, v21, v21
	v_fmac_f32_e32 v9, v11, v27
	v_and_b32_e32 v1, 0xffff0000, v1
	v_cndmask_b32_e64 v10, v25, v28, s0
	v_cmp_u_f32_e64 s0, v5, v5
	v_lshlrev_b32_e32 v11, 16, v18
	v_fmac_f32_e32 v1, v2, v23
	v_and_b32_e32 v10, 0xffff0000, v10
	v_cndmask_b32_e64 v5, v20, v24, s0
	v_bfe_u32 v2, v9, 16, 1
	v_cmp_u_f32_e64 s0, v9, v9
	v_fmac_f32_e32 v10, v17, v7
	v_and_b32_e32 v5, 0xffff0000, v5
	v_add3_u32 v2, v2, v9, 0x7fff
	v_bfe_u32 v18, v10, 16, 1
	v_fmac_f32_e32 v5, v11, v6
	v_bfe_u32 v6, v1, 16, 1
	v_or_b32_e32 v11, 0x400000, v9
	v_or_b32_e32 v9, 0x400000, v1
	v_bfe_u32 v17, v5, 16, 1
	v_add3_u32 v6, v6, v1, 0x7fff
	v_cndmask_b32_e64 v2, v2, v11, s0
	v_cmp_u_f32_e64 s0, v1, v1
	v_add3_u32 v11, v18, v10, 0x7fff
	v_add3_u32 v17, v17, v5, 0x7fff
	v_or_b32_e32 v18, 0x400000, v5
	v_and_b32_e32 v2, 0xffff0000, v2
	v_cndmask_b32_e64 v1, v6, v9, s0
	v_cmp_u_f32_e64 s0, v5, v5
	v_or_b32_e32 v6, 0x400000, v10
	v_lshlrev_b32_e32 v9, 16, v12
	v_lshlrev_b32_e32 v12, 16, v16
	v_and_b32_e32 v1, 0xffff0000, v1
	v_cndmask_b32_e64 v5, v17, v18, s0
	v_cmp_u_f32_e64 s0, v10, v10
	v_lshlrev_b32_e32 v16, 16, v8
	v_and_b32_e32 v8, 0xffff0000, v8
	v_fmac_f32_e32 v1, v3, v27
	v_and_b32_e32 v5, 0xffff0000, v5
	v_cndmask_b32_e64 v3, v11, v6, s0
	v_fmac_f32_e32 v2, v9, v16
	v_lshlrev_b32_e32 v9, 16, v15
	v_bfe_u32 v6, v1, 16, 1
	v_fmac_f32_e32 v5, v12, v7
	v_or_b32_e32 v10, 0x400000, v1
	v_cmp_u_f32_e64 s0, v1, v1
	v_and_b32_e32 v3, 0xffff0000, v3
	v_add3_u32 v6, v6, v1, 0x7fff
	v_bfe_u32 v7, v5, 16, 1
	v_or_b32_e32 v11, 0x400000, v5
	v_fmac_f32_e32 v3, v9, v8
	v_cndmask_b32_e64 v1, v6, v10, s0
	v_add3_u32 v7, v7, v5, 0x7fff
	v_cmp_u_f32_e64 s0, v5, v5
	v_bfe_u32 v6, v2, 16, 1
	v_lshlrev_b32_e32 v9, 16, v14
	v_and_b32_e32 v1, 0xffff0000, v1
	v_or_b32_e32 v10, 0x400000, v2
	v_cndmask_b32_e64 v5, v7, v11, s0
	v_bfe_u32 v7, v3, 16, 1
	v_add3_u32 v6, v6, v2, 0x7fff
	v_fmac_f32_e32 v1, v4, v16
	v_cmp_u_f32_e64 s0, v2, v2
	v_and_b32_e32 v5, 0xffff0000, v5
	v_add3_u32 v7, v7, v3, 0x7fff
	v_or_b32_e32 v4, 0x400000, v3
	v_cndmask_b32_e64 v2, v6, v10, s0
	v_fmac_f32_e32 v5, v9, v8
	v_bfe_u32 v6, v1, 16, 1
	v_cmp_u_f32_e64 s0, v3, v3
	v_mbcnt_lo_u32_b32 v9, -1, 0
	v_and_b32_e32 v2, 0xffff0000, v2
	v_bfe_u32 v8, v5, 16, 1
	v_cndmask_b32_e64 v3, v7, v4, s0
	v_add3_u32 v4, v6, v1, 0x7fff
	v_or_b32_e32 v6, 0x400000, v1
	v_cmp_u_f32_e64 s0, v1, v1
	v_add3_u32 v7, v8, v5, 0x7fff
	v_or_b32_e32 v8, 0x400000, v5
	v_and_b32_e32 v3, 0xffff0000, v3
	v_cndmask_b32_e64 v1, v4, v6, s0
	v_cmp_u_f32_e64 s0, v5, v5
	v_xor_b32_e32 v5, 16, v9
	v_add_f32_e32 v2, v2, v3
	v_xor_b32_e32 v6, 8, v9
	v_and_b32_e32 v1, 0xffff0000, v1
	v_cndmask_b32_e64 v4, v7, v8, s0
	v_cmp_gt_i32_e64 s0, 32, v5
	v_cndmask_b32_e32 v2, 0, v2, vcc_lo
	v_and_b32_e32 v4, 0xffff0000, v4
	v_cndmask_b32_e64 v3, v9, v5, s0
	s_mov_b32 s0, exec_lo
	v_add_f32_e32 v4, v1, v4
	v_lshlrev_b32_e32 v1, 2, v3
	v_cndmask_b32_e32 v3, 0, v4, vcc_lo
	ds_bpermute_b32 v4, v1, v2
	v_cmp_gt_i32_e32 vcc_lo, 32, v6
	ds_bpermute_b32 v5, v1, v3
	v_cndmask_b32_e32 v6, v9, v6, vcc_lo
	s_waitcnt lgkmcnt(1)
	v_add_f32_e32 v4, v2, v4
	v_lshlrev_b32_e32 v2, 2, v6
	s_waitcnt lgkmcnt(0)
	v_add_f32_e32 v5, v3, v5
	v_xor_b32_e32 v3, 4, v9
	ds_bpermute_b32 v6, v2, v4
	ds_bpermute_b32 v7, v2, v5
	v_cmp_gt_i32_e32 vcc_lo, 32, v3
	v_cndmask_b32_e32 v3, v9, v3, vcc_lo
	v_lshlrev_b32_e32 v3, 2, v3
	s_waitcnt lgkmcnt(1)
	v_add_f32_e32 v6, v4, v6
	v_xor_b32_e32 v4, 2, v9
	s_waitcnt lgkmcnt(0)
	v_add_f32_e32 v5, v5, v7
	ds_bpermute_b32 v7, v3, v6
	v_cmp_gt_i32_e32 vcc_lo, 32, v4
	ds_bpermute_b32 v8, v3, v5
	v_cndmask_b32_e32 v4, v9, v4, vcc_lo
	v_lshlrev_b32_e32 v4, 2, v4
	s_waitcnt lgkmcnt(1)
	v_add_f32_e32 v6, v6, v7
	s_waitcnt lgkmcnt(0)
	v_add_f32_e32 v8, v5, v8
	v_xor_b32_e32 v5, 1, v9
	ds_bpermute_b32 v7, v4, v6
	ds_bpermute_b32 v10, v4, v8
	v_cmp_gt_i32_e32 vcc_lo, 32, v5
	v_cndmask_b32_e32 v5, v9, v5, vcc_lo
	v_lshlrev_b32_e32 v5, 2, v5
	s_waitcnt lgkmcnt(1)
	v_add_f32_e32 v7, v6, v7
	v_and_b32_e32 v6, 31, v0
	s_waitcnt lgkmcnt(0)
	v_add_f32_e32 v8, v8, v10
	ds_bpermute_b32 v9, v5, v7
	ds_bpermute_b32 v10, v5, v8
	v_cmpx_gt_u32_e32 2, v6
	s_cbranch_execz .LBB4_4
; %bb.3:
	v_lshrrev_b32_e32 v11, 3, v0
	s_waitcnt lgkmcnt(0)
	v_add_f32_e32 v8, v8, v10
	v_add_f32_e32 v7, v7, v9
	v_cmp_eq_u32_e32 vcc_lo, 1, v6
	v_and_b32_e32 v11, 0x7c, v11
	v_cndmask_b32_e32 v7, v7, v8, vcc_lo
	v_lshl_or_b32 v9, v6, 7, v11
	ds_write_b32 v9, v7
.LBB4_4:
	s_or_b32 exec_lo, exec_lo, s0
	s_waitcnt lgkmcnt(0)
	s_barrier
	buffer_gl0_inv
	s_mov_b32 s0, exec_lo
	v_cmpx_gt_u32_e32 32, v0
	s_cbranch_execz .LBB4_9
; %bb.5:
	s_load_dword s0, s[4:5], 0x2c
	v_and_b32_e32 v7, 15, v0
	v_mov_b32_e32 v0, 0
	s_waitcnt lgkmcnt(0)
	s_and_b32 s0, 0xffff, s0
	s_lshr_b32 s0, s0, 5
	v_cmp_gt_u32_e32 vcc_lo, s0, v7
	s_and_saveexec_b32 s0, vcc_lo
; %bb.6:
	v_lshlrev_b32_e32 v0, 2, v7
	v_and_or_b32 v0, 0x1f80, v13, v0
	ds_read_b32 v0, v0
; %bb.7:
	s_or_b32 exec_lo, exec_lo, s0
	s_waitcnt lgkmcnt(0)
	ds_bpermute_b32 v2, v2, v0
	v_cmp_eq_u32_e32 vcc_lo, 0, v6
	s_mov_b32 s1, 0
	s_waitcnt lgkmcnt(0)
	v_add_f32_e32 v0, v0, v2
	ds_bpermute_b32 v2, v3, v0
	s_waitcnt lgkmcnt(0)
	v_add_f32_e32 v0, v0, v2
	ds_bpermute_b32 v2, v4, v0
	;; [unrolled: 3-line block ×4, first 2 shown]
	s_and_b32 exec_lo, exec_lo, vcc_lo
	s_cbranch_execz .LBB4_9
; %bb.8:
	v_bfe_u32 v1, v2, 16, 1
	s_waitcnt lgkmcnt(0)
	v_bfe_u32 v3, v0, 16, 1
	v_or_b32_e32 v4, 0x400000, v2
	v_cmp_u_f32_e32 vcc_lo, v2, v2
	v_or_b32_e32 v5, 0x400000, v0
	v_add3_u32 v1, v1, v2, 0x7fff
	v_add3_u32 v3, v3, v0, 0x7fff
	s_and_b32 s0, s6, 0x7fffffff
	v_mov_b32_e32 v2, 0
	s_lshl_b64 s[0:1], s[0:1], 2
	v_cndmask_b32_e32 v1, v1, v4, vcc_lo
	v_cmp_u_f32_e32 vcc_lo, v0, v0
	s_add_u32 s0, s8, s0
	s_addc_u32 s1, s9, s1
	v_cndmask_b32_e32 v0, v3, v5, vcc_lo
	v_perm_b32 v0, v0, v1, 0x7060302
	global_store_dword v2, v0, s[0:1]
.LBB4_9:
	s_endpgm
	.section	.rodata,"a",@progbits
	.p2align	6, 0x0
	.amdhsa_kernel _Z14LLGemm1_kernelIN3c108BFloat16ELi2EEvPKT_S4_PS2_i
		.amdhsa_group_segment_fixed_size 256
		.amdhsa_private_segment_fixed_size 0
		.amdhsa_kernarg_size 288
		.amdhsa_user_sgpr_count 6
		.amdhsa_user_sgpr_private_segment_buffer 1
		.amdhsa_user_sgpr_dispatch_ptr 0
		.amdhsa_user_sgpr_queue_ptr 0
		.amdhsa_user_sgpr_kernarg_segment_ptr 1
		.amdhsa_user_sgpr_dispatch_id 0
		.amdhsa_user_sgpr_flat_scratch_init 0
		.amdhsa_user_sgpr_private_segment_size 0
		.amdhsa_wavefront_size32 1
		.amdhsa_uses_dynamic_stack 0
		.amdhsa_system_sgpr_private_segment_wavefront_offset 0
		.amdhsa_system_sgpr_workgroup_id_x 1
		.amdhsa_system_sgpr_workgroup_id_y 0
		.amdhsa_system_sgpr_workgroup_id_z 0
		.amdhsa_system_sgpr_workgroup_info 0
		.amdhsa_system_vgpr_workitem_id 0
		.amdhsa_next_free_vgpr 29
		.amdhsa_next_free_sgpr 12
		.amdhsa_reserve_vcc 1
		.amdhsa_reserve_flat_scratch 0
		.amdhsa_float_round_mode_32 0
		.amdhsa_float_round_mode_16_64 0
		.amdhsa_float_denorm_mode_32 3
		.amdhsa_float_denorm_mode_16_64 3
		.amdhsa_dx10_clamp 1
		.amdhsa_ieee_mode 1
		.amdhsa_fp16_overflow 0
		.amdhsa_workgroup_processor_mode 1
		.amdhsa_memory_ordered 1
		.amdhsa_forward_progress 1
		.amdhsa_shared_vgpr_count 0
		.amdhsa_exception_fp_ieee_invalid_op 0
		.amdhsa_exception_fp_denorm_src 0
		.amdhsa_exception_fp_ieee_div_zero 0
		.amdhsa_exception_fp_ieee_overflow 0
		.amdhsa_exception_fp_ieee_underflow 0
		.amdhsa_exception_fp_ieee_inexact 0
		.amdhsa_exception_int_div_zero 0
	.end_amdhsa_kernel
	.section	.text._Z14LLGemm1_kernelIN3c108BFloat16ELi2EEvPKT_S4_PS2_i,"axG",@progbits,_Z14LLGemm1_kernelIN3c108BFloat16ELi2EEvPKT_S4_PS2_i,comdat
.Lfunc_end4:
	.size	_Z14LLGemm1_kernelIN3c108BFloat16ELi2EEvPKT_S4_PS2_i, .Lfunc_end4-_Z14LLGemm1_kernelIN3c108BFloat16ELi2EEvPKT_S4_PS2_i
                                        ; -- End function
	.set _Z14LLGemm1_kernelIN3c108BFloat16ELi2EEvPKT_S4_PS2_i.num_vgpr, 29
	.set _Z14LLGemm1_kernelIN3c108BFloat16ELi2EEvPKT_S4_PS2_i.num_agpr, 0
	.set _Z14LLGemm1_kernelIN3c108BFloat16ELi2EEvPKT_S4_PS2_i.numbered_sgpr, 12
	.set _Z14LLGemm1_kernelIN3c108BFloat16ELi2EEvPKT_S4_PS2_i.num_named_barrier, 0
	.set _Z14LLGemm1_kernelIN3c108BFloat16ELi2EEvPKT_S4_PS2_i.private_seg_size, 0
	.set _Z14LLGemm1_kernelIN3c108BFloat16ELi2EEvPKT_S4_PS2_i.uses_vcc, 1
	.set _Z14LLGemm1_kernelIN3c108BFloat16ELi2EEvPKT_S4_PS2_i.uses_flat_scratch, 0
	.set _Z14LLGemm1_kernelIN3c108BFloat16ELi2EEvPKT_S4_PS2_i.has_dyn_sized_stack, 0
	.set _Z14LLGemm1_kernelIN3c108BFloat16ELi2EEvPKT_S4_PS2_i.has_recursion, 0
	.set _Z14LLGemm1_kernelIN3c108BFloat16ELi2EEvPKT_S4_PS2_i.has_indirect_call, 0
	.section	.AMDGPU.csdata,"",@progbits
; Kernel info:
; codeLenInByte = 1844
; TotalNumSgprs: 14
; NumVgprs: 29
; ScratchSize: 0
; MemoryBound: 0
; FloatMode: 240
; IeeeMode: 1
; LDSByteSize: 256 bytes/workgroup (compile time only)
; SGPRBlocks: 0
; VGPRBlocks: 3
; NumSGPRsForWavesPerEU: 14
; NumVGPRsForWavesPerEU: 29
; Occupancy: 16
; WaveLimiterHint : 0
; COMPUTE_PGM_RSRC2:SCRATCH_EN: 0
; COMPUTE_PGM_RSRC2:USER_SGPR: 6
; COMPUTE_PGM_RSRC2:TRAP_HANDLER: 0
; COMPUTE_PGM_RSRC2:TGID_X_EN: 1
; COMPUTE_PGM_RSRC2:TGID_Y_EN: 0
; COMPUTE_PGM_RSRC2:TGID_Z_EN: 0
; COMPUTE_PGM_RSRC2:TIDIG_COMP_CNT: 0
	.section	.text._Z14LLGemm1_kernelIN3c108BFloat16ELi4EEvPKT_S4_PS2_i,"axG",@progbits,_Z14LLGemm1_kernelIN3c108BFloat16ELi4EEvPKT_S4_PS2_i,comdat
	.protected	_Z14LLGemm1_kernelIN3c108BFloat16ELi4EEvPKT_S4_PS2_i ; -- Begin function _Z14LLGemm1_kernelIN3c108BFloat16ELi4EEvPKT_S4_PS2_i
	.globl	_Z14LLGemm1_kernelIN3c108BFloat16ELi4EEvPKT_S4_PS2_i
	.p2align	8
	.type	_Z14LLGemm1_kernelIN3c108BFloat16ELi4EEvPKT_S4_PS2_i,@function
_Z14LLGemm1_kernelIN3c108BFloat16ELi4EEvPKT_S4_PS2_i: ; @_Z14LLGemm1_kernelIN3c108BFloat16ELi4EEvPKT_S4_PS2_i
; %bb.0:
	s_clause 0x2
	s_load_dword s0, s[4:5], 0x18
	s_load_dwordx4 s[8:11], s[4:5], 0x0
	s_load_dwordx2 s[2:3], s[4:5], 0x10
	v_lshlrev_b32_e32 v21, 3, v0
                                        ; implicit-def: $vgpr1
                                        ; implicit-def: $vgpr22
                                        ; implicit-def: $vgpr8
                                        ; implicit-def: $vgpr23
                                        ; implicit-def: $vgpr24
                                        ; implicit-def: $vgpr26
                                        ; implicit-def: $vgpr25
                                        ; implicit-def: $vgpr12
                                        ; implicit-def: $vgpr29
                                        ; implicit-def: $vgpr31
                                        ; implicit-def: $vgpr32
                                        ; implicit-def: $vgpr30
                                        ; implicit-def: $vgpr20
                                        ; implicit-def: $vgpr33
                                        ; implicit-def: $vgpr34
                                        ; implicit-def: $vgpr28
                                        ; implicit-def: $vgpr16
	s_waitcnt lgkmcnt(0)
	v_cmp_gt_i32_e32 vcc_lo, s0, v21
	s_and_saveexec_b32 s1, vcc_lo
	s_cbranch_execz .LBB5_2
; %bb.1:
	s_mul_i32 s7, s6, s0
	v_mov_b32_e32 v2, 0
	s_bfe_u32 s7, s7, 0x1d0001
	s_lshr_b32 s12, s0, 3
	v_add_nc_u32_e32 v1, s7, v0
	s_mov_b32 s13, 0
	s_lshl_b64 s[14:15], s[12:13], 4
	v_lshlrev_b64 v[3:4], 4, v[1:2]
	v_add3_u32 v1, s12, s12, v1
	v_lshlrev_b64 v[5:6], 4, v[1:2]
	v_add_co_u32 v3, s0, s8, v3
	v_add_co_ci_u32_e64 v4, null, s9, v4, s0
	v_add_nc_u32_e32 v1, s12, v1
	global_load_dwordx4 v[17:20], v[3:4], off slc
	v_add_co_u32 v3, s0, v3, s14
	v_add_co_ci_u32_e64 v4, null, s15, v4, s0
	v_add_co_u32 v5, s0, s8, v5
	v_lshlrev_b64 v[1:2], 4, v[1:2]
	v_add_co_ci_u32_e64 v6, null, s9, v6, s0
	s_clause 0x1
	global_load_dwordx4 v[9:12], v[3:4], off slc
	global_load_dwordx4 v[5:8], v[5:6], off slc
	v_add_co_u32 v1, s0, s8, v1
	v_lshlrev_b32_e32 v3, 4, v0
	v_add_co_ci_u32_e64 v2, null, s9, v2, s0
	global_load_dwordx4 v[13:16], v3, s[10:11]
	global_load_dwordx4 v[1:4], v[1:2], off slc
	s_waitcnt vmcnt(4)
	v_lshrrev_b32_e32 v28, 16, v17
	v_lshrrev_b32_e32 v34, 16, v18
	v_lshrrev_b32_e32 v33, 16, v19
	v_lshrrev_b32_e32 v30, 16, v20
	s_waitcnt vmcnt(3)
	v_lshrrev_b32_e32 v32, 16, v9
	v_lshrrev_b32_e32 v31, 16, v10
	v_lshrrev_b32_e32 v29, 16, v11
	v_lshrrev_b32_e32 v25, 16, v12
	;; [unrolled: 5-line block ×3, first 2 shown]
.LBB5_2:
	s_or_b32 exec_lo, exec_lo, s1
	v_lshlrev_b32_e32 v17, 16, v17
	s_waitcnt vmcnt(1)
	v_lshlrev_b32_e32 v27, 16, v13
	v_lshlrev_b32_e32 v35, 16, v28
	v_and_b32_e32 v28, 0xffff0000, v13
	v_lshlrev_b32_e32 v37, 16, v18
	v_lshlrev_b32_e32 v34, 16, v34
	v_mul_f32_e32 v36, v27, v17
	v_lshlrev_b32_e32 v17, 16, v14
	v_mul_f32_e32 v35, v28, v35
	v_and_b32_e32 v18, 0xffff0000, v14
	v_lshlrev_b32_e32 v9, 16, v9
	v_bfe_u32 v13, v36, 16, 1
	v_or_b32_e32 v38, 0x400000, v36
	v_bfe_u32 v39, v35, 16, 1
	v_cmp_u_f32_e64 s0, v36, v36
	v_mul_f32_e32 v9, v27, v9
	v_add3_u32 v13, v13, v36, 0x7fff
	v_or_b32_e32 v36, 0x400000, v35
	v_lshlrev_b32_e32 v32, 16, v32
	v_lshlrev_b32_e32 v19, 16, v19
	;; [unrolled: 1-line block ×3, first 2 shown]
	v_cndmask_b32_e64 v13, v13, v38, s0
	v_add3_u32 v38, v39, v35, 0x7fff
	v_cmp_u_f32_e64 s0, v35, v35
	v_mul_f32_e32 v32, v28, v32
	v_or_b32_e32 v40, 0x400000, v9
	v_and_b32_e32 v39, 0xffff0000, v13
	v_lshlrev_b32_e32 v33, 16, v33
	v_cndmask_b32_e64 v35, v38, v36, s0
	v_and_b32_e32 v15, 0xffff0000, v15
	v_lshlrev_b32_e32 v10, 16, v10
	v_fmac_f32_e32 v39, v37, v17
	v_bfe_u32 v37, v9, 16, 1
	v_and_b32_e32 v35, 0xffff0000, v35
	v_lshlrev_b32_e32 v31, 16, v31
	v_lshlrev_b32_e32 v20, 16, v20
	v_bfe_u32 v36, v39, 16, 1
	v_cmp_u_f32_e64 s0, v39, v39
	v_fmac_f32_e32 v35, v34, v18
	v_or_b32_e32 v34, 0x400000, v39
	v_add3_u32 v37, v37, v9, 0x7fff
	v_add3_u32 v36, v36, v39, 0x7fff
	v_bfe_u32 v39, v32, 16, 1
	v_bfe_u32 v38, v35, 16, 1
	v_lshlrev_b32_e32 v13, 16, v16
	v_lshlrev_b32_e32 v30, 16, v30
	v_cndmask_b32_e64 v34, v36, v34, s0
	v_or_b32_e32 v36, 0x400000, v35
	v_add3_u32 v38, v38, v35, 0x7fff
	v_cmp_u_f32_e64 s0, v35, v35
	v_lshlrev_b32_e32 v11, 16, v11
	v_and_b32_e32 v34, 0xffff0000, v34
	v_lshlrev_b32_e32 v29, 16, v29
	v_lshlrev_b32_e32 v5, 16, v5
	v_cndmask_b32_e64 v35, v38, v36, s0
	v_cmp_u_f32_e64 s0, v9, v9
	v_fmac_f32_e32 v34, v19, v14
	v_or_b32_e32 v19, 0x400000, v32
	v_add3_u32 v36, v39, v32, 0x7fff
	v_and_b32_e32 v35, 0xffff0000, v35
	v_cndmask_b32_e64 v9, v37, v40, s0
	v_bfe_u32 v37, v34, 16, 1
	v_cmp_u_f32_e64 s0, v32, v32
	v_mul_f32_e32 v5, v27, v5
	v_fmac_f32_e32 v35, v33, v15
	v_and_b32_e32 v9, 0xffff0000, v9
	v_add3_u32 v32, v37, v34, 0x7fff
	v_cndmask_b32_e64 v19, v36, v19, s0
	v_cmp_u_f32_e64 s0, v34, v34
	v_bfe_u32 v33, v35, 16, 1
	v_fmac_f32_e32 v9, v10, v17
	v_or_b32_e32 v10, 0x400000, v34
	v_and_b32_e32 v19, 0xffff0000, v19
	v_lshlrev_b32_e32 v12, 16, v12
	v_add3_u32 v33, v33, v35, 0x7fff
	v_bfe_u32 v36, v9, 16, 1
	v_cndmask_b32_e64 v10, v32, v10, s0
	v_or_b32_e32 v32, 0x400000, v35
	v_cmp_u_f32_e64 s0, v35, v35
	v_or_b32_e32 v34, 0x400000, v9
	v_add3_u32 v36, v36, v9, 0x7fff
	v_and_b32_e32 v10, 0xffff0000, v10
	v_fmac_f32_e32 v19, v31, v18
	v_cndmask_b32_e64 v32, v33, v32, s0
	v_cmp_u_f32_e64 s0, v9, v9
	v_and_b32_e32 v9, 0xffff0000, v16
	v_fmac_f32_e32 v10, v20, v13
	v_lshlrev_b32_e32 v26, 16, v26
	v_and_b32_e32 v20, 0xffff0000, v32
	v_cndmask_b32_e64 v31, v36, v34, s0
	v_bfe_u32 v32, v19, 16, 1
	v_bfe_u32 v33, v10, 16, 1
	v_cmp_u_f32_e64 s0, v19, v19
	v_fmac_f32_e32 v20, v30, v9
	v_and_b32_e32 v16, 0xffff0000, v31
	v_add3_u32 v31, v32, v19, 0x7fff
	v_or_b32_e32 v32, 0x400000, v19
	v_add3_u32 v19, v33, v10, 0x7fff
	v_or_b32_e32 v30, 0x400000, v10
	v_fmac_f32_e32 v16, v11, v14
	v_lshlrev_b32_e32 v25, 16, v25
	v_cndmask_b32_e64 v11, v31, v32, s0
	v_bfe_u32 v31, v20, 16, 1
	v_cmp_u_f32_e64 s0, v10, v10
	v_bfe_u32 v32, v16, 16, 1
	v_lshlrev_b32_e32 v6, 16, v6
	v_and_b32_e32 v11, 0xffff0000, v11
	v_lshlrev_b32_e32 v24, 16, v24
	v_cndmask_b32_e64 v10, v19, v30, s0
	v_add3_u32 v19, v31, v20, 0x7fff
	v_or_b32_e32 v30, 0x400000, v20
	v_cmp_u_f32_e64 s0, v20, v20
	v_add3_u32 v31, v32, v16, 0x7fff
	v_fmac_f32_e32 v11, v29, v15
	v_or_b32_e32 v29, 0x400000, v16
	v_and_b32_e32 v10, 0xffff0000, v10
	v_cndmask_b32_e64 v19, v19, v30, s0
	v_cmp_u_f32_e64 s0, v16, v16
	v_bfe_u32 v20, v11, 16, 1
	v_bfe_u32 v30, v5, 16, 1
	v_lshlrev_b32_e32 v7, 16, v7
	v_and_b32_e32 v19, 0xffff0000, v19
	v_cndmask_b32_e64 v16, v31, v29, s0
	v_add3_u32 v20, v20, v11, 0x7fff
	v_or_b32_e32 v29, 0x400000, v11
	v_cmp_u_f32_e64 s0, v11, v11
	v_add_f32_e32 v10, v10, v19
	v_and_b32_e32 v16, 0xffff0000, v16
	v_lshlrev_b32_e32 v8, 16, v8
	v_cndmask_b32_e64 v11, v20, v29, s0
	v_or_b32_e32 v20, 0x400000, v5
	v_fmac_f32_e32 v16, v12, v13
	v_add3_u32 v12, v30, v5, 0x7fff
	v_cmp_u_f32_e64 s0, v5, v5
	v_and_b32_e32 v11, 0xffff0000, v11
	v_bfe_u32 v19, v16, 16, 1
	v_cndmask_b32_e64 v5, v12, v20, s0
	v_mul_f32_e32 v12, v28, v26
	v_fmac_f32_e32 v11, v25, v9
	v_add3_u32 v19, v19, v16, 0x7fff
	v_or_b32_e32 v25, 0x400000, v16
	v_and_b32_e32 v5, 0xffff0000, v5
	v_bfe_u32 v20, v12, 16, 1
	v_cmp_u_f32_e64 s0, v16, v16
	v_bfe_u32 v26, v11, 16, 1
	v_fmac_f32_e32 v5, v6, v17
	v_add3_u32 v6, v20, v12, 0x7fff
	v_or_b32_e32 v20, 0x400000, v12
	v_cndmask_b32_e64 v16, v19, v25, s0
	v_cmp_u_f32_e64 s0, v12, v12
	v_bfe_u32 v19, v5, 16, 1
	v_add3_u32 v25, v26, v11, 0x7fff
	v_or_b32_e32 v26, 0x400000, v5
	v_or_b32_e32 v12, 0x400000, v11
	v_cndmask_b32_e64 v6, v6, v20, s0
	s_waitcnt vmcnt(0)
	v_and_b32_e32 v20, 0xffff0000, v1
	v_add3_u32 v19, v19, v5, 0x7fff
	v_lshlrev_b32_e32 v1, 16, v1
	v_cmp_u_f32_e64 s0, v5, v5
	v_and_b32_e32 v6, 0xffff0000, v6
	v_mul_f32_e32 v20, v28, v20
	v_mul_f32_e32 v1, v27, v1
	v_cndmask_b32_e64 v5, v19, v26, s0
	v_cmp_u_f32_e64 s0, v11, v11
	v_bfe_u32 v19, v20, 16, 1
	v_fmac_f32_e32 v6, v24, v18
	v_or_b32_e32 v26, 0x400000, v1
	v_and_b32_e32 v5, 0xffff0000, v5
	v_cndmask_b32_e64 v11, v25, v12, s0
	v_bfe_u32 v12, v1, 16, 1
	v_add3_u32 v19, v19, v20, 0x7fff
	v_or_b32_e32 v25, 0x400000, v20
	v_cmp_u_f32_e64 s0, v20, v20
	v_bfe_u32 v24, v6, 16, 1
	v_add3_u32 v12, v12, v1, 0x7fff
	v_or_b32_e32 v20, 0x400000, v6
	v_fmac_f32_e32 v5, v7, v14
	v_cndmask_b32_e64 v19, v19, v25, s0
	v_cmp_u_f32_e64 s0, v1, v1
	v_and_b32_e32 v7, 0xffff0000, v19
	v_cndmask_b32_e64 v1, v12, v26, s0
	v_add3_u32 v12, v24, v6, 0x7fff
	v_lshlrev_b32_e32 v19, 16, v2
	v_cmp_u_f32_e64 s0, v6, v6
	v_and_b32_e32 v2, 0xffff0000, v2
	v_and_b32_e32 v1, 0xffff0000, v1
	v_cndmask_b32_e64 v6, v12, v20, s0
	v_fmac_f32_e32 v7, v2, v18
	v_fmac_f32_e32 v1, v19, v17
	v_and_b32_e32 v12, 0xffff0000, v16
	v_bfe_u32 v16, v5, 16, 1
	v_and_b32_e32 v2, 0xffff0000, v6
	v_lshlrev_b32_e32 v6, 16, v23
	v_bfe_u32 v17, v1, 16, 1
	v_bfe_u32 v18, v7, 16, 1
	v_cmp_u_f32_e64 s0, v1, v1
	v_or_b32_e32 v20, 0x400000, v7
	v_fmac_f32_e32 v2, v6, v15
	v_add3_u32 v6, v17, v1, 0x7fff
	v_or_b32_e32 v17, 0x400000, v1
	v_add3_u32 v18, v18, v7, 0x7fff
	v_add3_u32 v16, v16, v5, 0x7fff
	v_or_b32_e32 v19, 0x400000, v5
	v_bfe_u32 v23, v2, 16, 1
	v_cndmask_b32_e64 v1, v6, v17, s0
	v_cmp_u_f32_e64 s0, v7, v7
	v_or_b32_e32 v17, 0x400000, v2
	v_add3_u32 v7, v23, v2, 0x7fff
	v_and_b32_e32 v1, 0xffff0000, v1
	v_cndmask_b32_e64 v6, v18, v20, s0
	v_cmp_u_f32_e64 s0, v5, v5
	v_and_b32_e32 v6, 0xffff0000, v6
	v_cndmask_b32_e64 v5, v16, v19, s0
	v_lshlrev_b32_e32 v16, 16, v3
	v_and_b32_e32 v3, 0xffff0000, v3
	v_cmp_u_f32_e64 s0, v2, v2
	v_and_b32_e32 v5, 0xffff0000, v5
	v_fmac_f32_e32 v1, v16, v14
	v_fmac_f32_e32 v6, v3, v15
	v_cndmask_b32_e64 v2, v7, v17, s0
	v_and_b32_e32 v7, 0xffff0000, v11
	v_fmac_f32_e32 v5, v8, v13
	v_bfe_u32 v3, v1, 16, 1
	v_bfe_u32 v8, v6, 16, 1
	v_or_b32_e32 v11, 0x400000, v1
	v_cmp_u_f32_e64 s0, v1, v1
	v_and_b32_e32 v2, 0xffff0000, v2
	v_add3_u32 v3, v3, v1, 0x7fff
	v_lshlrev_b32_e32 v14, 16, v22
	v_add3_u32 v8, v8, v6, 0x7fff
	v_or_b32_e32 v15, 0x400000, v6
	v_add_f32_e32 v7, v12, v7
	v_cndmask_b32_e64 v1, v3, v11, s0
	v_cmp_u_f32_e64 s0, v6, v6
	v_fmac_f32_e32 v2, v14, v9
	v_bfe_u32 v6, v5, 16, 1
	v_and_b32_e32 v1, 0xffff0000, v1
	v_cndmask_b32_e64 v3, v8, v15, s0
	v_lshlrev_b32_e32 v8, 16, v4
	v_bfe_u32 v11, v2, 16, 1
	v_and_b32_e32 v4, 0xffff0000, v4
	v_add3_u32 v6, v6, v5, 0x7fff
	v_and_b32_e32 v3, 0xffff0000, v3
	v_fmac_f32_e32 v1, v8, v13
	v_or_b32_e32 v8, 0x400000, v5
	v_cmp_u_f32_e64 s0, v5, v5
	v_add3_u32 v11, v11, v2, 0x7fff
	v_fmac_f32_e32 v3, v4, v9
	v_or_b32_e32 v4, 0x400000, v2
	v_bfe_u32 v9, v1, 16, 1
	v_cndmask_b32_e64 v5, v6, v8, s0
	v_cmp_u_f32_e64 s0, v2, v2
	v_bfe_u32 v6, v3, 16, 1
	v_or_b32_e32 v8, 0x400000, v1
	v_and_b32_e32 v5, 0xffff0000, v5
	v_cndmask_b32_e64 v2, v11, v4, s0
	v_add3_u32 v4, v9, v1, 0x7fff
	v_cmp_u_f32_e64 s0, v1, v1
	v_add3_u32 v6, v6, v3, 0x7fff
	v_or_b32_e32 v9, 0x400000, v3
	v_mbcnt_lo_u32_b32 v11, -1, 0
	v_and_b32_e32 v2, 0xffff0000, v2
	v_cndmask_b32_e64 v1, v4, v8, s0
	v_cmp_u_f32_e64 s0, v3, v3
	v_xor_b32_e32 v4, 16, v11
	v_add_f32_e32 v2, v5, v2
	v_and_b32_e32 v1, 0xffff0000, v1
	v_cndmask_b32_e64 v3, v6, v9, s0
	v_cndmask_b32_e32 v6, 0, v10, vcc_lo
	v_cmp_gt_i32_e64 s0, 32, v4
	v_cndmask_b32_e32 v5, 0, v2, vcc_lo
	v_xor_b32_e32 v10, 8, v11
	v_and_b32_e32 v3, 0xffff0000, v3
	v_xor_b32_e32 v12, 4, v11
	v_cndmask_b32_e64 v4, v11, v4, s0
	v_xor_b32_e32 v13, 2, v11
	v_xor_b32_e32 v14, 1, v11
	v_add_f32_e32 v3, v1, v3
	s_mov_b32 s0, exec_lo
	v_lshlrev_b32_e32 v1, 2, v4
	v_cndmask_b32_e32 v4, 0, v7, vcc_lo
	v_cndmask_b32_e32 v3, 0, v3, vcc_lo
	v_cmp_gt_i32_e32 vcc_lo, 32, v10
	ds_bpermute_b32 v2, v1, v6
	ds_bpermute_b32 v7, v1, v4
	;; [unrolled: 1-line block ×4, first 2 shown]
	v_cndmask_b32_e32 v10, v11, v10, vcc_lo
	v_cmp_gt_i32_e32 vcc_lo, 32, v12
	v_cndmask_b32_e32 v12, v11, v12, vcc_lo
	v_cmp_gt_i32_e32 vcc_lo, 32, v13
	;; [unrolled: 2-line block ×3, first 2 shown]
	s_waitcnt lgkmcnt(3)
	v_add_f32_e32 v6, v6, v2
	v_lshlrev_b32_e32 v2, 2, v10
	s_waitcnt lgkmcnt(2)
	v_add_f32_e32 v4, v4, v7
	s_waitcnt lgkmcnt(1)
	v_add_f32_e32 v5, v5, v8
	;; [unrolled: 2-line block ×3, first 2 shown]
	v_cndmask_b32_e32 v11, v11, v14, vcc_lo
	ds_bpermute_b32 v3, v2, v6
	ds_bpermute_b32 v8, v2, v4
	ds_bpermute_b32 v9, v2, v5
	ds_bpermute_b32 v10, v2, v7
	s_waitcnt lgkmcnt(3)
	v_add_f32_e32 v6, v6, v3
	v_lshlrev_b32_e32 v3, 2, v12
	s_waitcnt lgkmcnt(2)
	v_add_f32_e32 v4, v4, v8
	s_waitcnt lgkmcnt(1)
	v_add_f32_e32 v8, v5, v9
	s_waitcnt lgkmcnt(0)
	v_add_f32_e32 v7, v7, v10
	ds_bpermute_b32 v5, v3, v6
	ds_bpermute_b32 v9, v3, v4
	ds_bpermute_b32 v10, v3, v8
	ds_bpermute_b32 v12, v3, v7
	s_waitcnt lgkmcnt(3)
	v_add_f32_e32 v6, v6, v5
	v_lshlrev_b32_e32 v5, 2, v13
	s_waitcnt lgkmcnt(2)
	v_add_f32_e32 v4, v4, v9
	s_waitcnt lgkmcnt(1)
	v_add_f32_e32 v8, v8, v10
	s_waitcnt lgkmcnt(0)
	v_add_f32_e32 v7, v7, v12
	;; [unrolled: 13-line block ×3, first 2 shown]
	v_and_b32_e32 v7, 31, v0
	ds_bpermute_b32 v13, v6, v9
	ds_bpermute_b32 v14, v6, v10
	;; [unrolled: 1-line block ×4, first 2 shown]
	v_lshrrev_b32_e32 v4, 5, v0
	v_cmpx_gt_u32_e32 4, v7
	s_cbranch_execz .LBB5_4
; %bb.3:
	s_waitcnt lgkmcnt(3)
	v_add_f32_e32 v9, v9, v13
	s_waitcnt lgkmcnt(2)
	v_add_f32_e32 v10, v10, v14
	v_cmp_eq_u32_e32 vcc_lo, 1, v7
	s_waitcnt lgkmcnt(1)
	v_add_f32_e32 v11, v11, v15
	s_waitcnt lgkmcnt(0)
	v_add_f32_e32 v8, v8, v12
	v_cndmask_b32_e32 v9, v9, v10, vcc_lo
	v_cmp_eq_u32_e32 vcc_lo, 2, v7
	v_lshlrev_b32_e32 v10, 2, v4
	v_cndmask_b32_e32 v9, v9, v11, vcc_lo
	v_cmp_eq_u32_e32 vcc_lo, 3, v7
	v_lshl_or_b32 v10, v7, 7, v10
	v_cndmask_b32_e32 v8, v9, v8, vcc_lo
	ds_write_b32 v10, v8
.LBB5_4:
	s_or_b32 exec_lo, exec_lo, s0
	s_waitcnt lgkmcnt(0)
	s_barrier
	buffer_gl0_inv
	s_mov_b32 s0, exec_lo
	v_cmpx_gt_u32_e32 64, v0
	s_cbranch_execz .LBB5_9
; %bb.5:
	s_load_dword s0, s[4:5], 0x2c
	v_and_b32_e32 v8, 15, v0
	v_mov_b32_e32 v0, 0
	s_waitcnt lgkmcnt(0)
	s_and_b32 s0, 0xffff, s0
	s_lshr_b32 s0, s0, 5
	v_cmp_gt_u32_e32 vcc_lo, s0, v8
	s_and_saveexec_b32 s0, vcc_lo
; %bb.6:
	v_lshlrev_b32_e32 v0, 2, v8
	v_and_or_b32 v0, 0x1f80, v21, v0
	ds_read_b32 v0, v0
; %bb.7:
	s_or_b32 exec_lo, exec_lo, s0
	s_waitcnt lgkmcnt(0)
	ds_bpermute_b32 v2, v2, v0
	v_cmp_eq_u32_e32 vcc_lo, 0, v7
	s_waitcnt lgkmcnt(0)
	v_add_f32_e32 v0, v0, v2
	ds_bpermute_b32 v2, v3, v0
	s_waitcnt lgkmcnt(0)
	v_add_f32_e32 v0, v0, v2
	ds_bpermute_b32 v2, v5, v0
	;; [unrolled: 3-line block ×4, first 2 shown]
	s_and_b32 exec_lo, exec_lo, vcc_lo
	s_cbranch_execz .LBB5_9
; %bb.8:
	v_bfe_u32 v1, v2, 16, 1
	s_waitcnt lgkmcnt(0)
	v_bfe_u32 v3, v0, 16, 1
	s_lshl_b32 s0, s6, 1
	v_or_b32_e32 v6, 0x400000, v2
	v_cmp_u_f32_e32 vcc_lo, v2, v2
	v_add3_u32 v1, v1, v2, 0x7fff
	v_mov_b32_e32 v5, 0
	v_and_or_b32 v4, 0x7ffffffe, s0, v4
	v_add3_u32 v7, v3, v0, 0x7fff
	v_or_b32_e32 v8, 0x400000, v0
	v_cndmask_b32_e32 v2, v1, v6, vcc_lo
	v_cmp_u_f32_e32 vcc_lo, v0, v0
	v_lshlrev_b64 v[3:4], 2, v[4:5]
	v_cndmask_b32_e32 v5, v7, v8, vcc_lo
	v_add_co_u32 v0, vcc_lo, s2, v3
	v_add_co_ci_u32_e64 v1, null, s3, v4, vcc_lo
	v_perm_b32 v2, v5, v2, 0x7060302
	global_store_dword v[0:1], v2, off
.LBB5_9:
	s_endpgm
	.section	.rodata,"a",@progbits
	.p2align	6, 0x0
	.amdhsa_kernel _Z14LLGemm1_kernelIN3c108BFloat16ELi4EEvPKT_S4_PS2_i
		.amdhsa_group_segment_fixed_size 512
		.amdhsa_private_segment_fixed_size 0
		.amdhsa_kernarg_size 288
		.amdhsa_user_sgpr_count 6
		.amdhsa_user_sgpr_private_segment_buffer 1
		.amdhsa_user_sgpr_dispatch_ptr 0
		.amdhsa_user_sgpr_queue_ptr 0
		.amdhsa_user_sgpr_kernarg_segment_ptr 1
		.amdhsa_user_sgpr_dispatch_id 0
		.amdhsa_user_sgpr_flat_scratch_init 0
		.amdhsa_user_sgpr_private_segment_size 0
		.amdhsa_wavefront_size32 1
		.amdhsa_uses_dynamic_stack 0
		.amdhsa_system_sgpr_private_segment_wavefront_offset 0
		.amdhsa_system_sgpr_workgroup_id_x 1
		.amdhsa_system_sgpr_workgroup_id_y 0
		.amdhsa_system_sgpr_workgroup_id_z 0
		.amdhsa_system_sgpr_workgroup_info 0
		.amdhsa_system_vgpr_workitem_id 0
		.amdhsa_next_free_vgpr 41
		.amdhsa_next_free_sgpr 16
		.amdhsa_reserve_vcc 1
		.amdhsa_reserve_flat_scratch 0
		.amdhsa_float_round_mode_32 0
		.amdhsa_float_round_mode_16_64 0
		.amdhsa_float_denorm_mode_32 3
		.amdhsa_float_denorm_mode_16_64 3
		.amdhsa_dx10_clamp 1
		.amdhsa_ieee_mode 1
		.amdhsa_fp16_overflow 0
		.amdhsa_workgroup_processor_mode 1
		.amdhsa_memory_ordered 1
		.amdhsa_forward_progress 1
		.amdhsa_shared_vgpr_count 0
		.amdhsa_exception_fp_ieee_invalid_op 0
		.amdhsa_exception_fp_denorm_src 0
		.amdhsa_exception_fp_ieee_div_zero 0
		.amdhsa_exception_fp_ieee_overflow 0
		.amdhsa_exception_fp_ieee_underflow 0
		.amdhsa_exception_fp_ieee_inexact 0
		.amdhsa_exception_int_div_zero 0
	.end_amdhsa_kernel
	.section	.text._Z14LLGemm1_kernelIN3c108BFloat16ELi4EEvPKT_S4_PS2_i,"axG",@progbits,_Z14LLGemm1_kernelIN3c108BFloat16ELi4EEvPKT_S4_PS2_i,comdat
.Lfunc_end5:
	.size	_Z14LLGemm1_kernelIN3c108BFloat16ELi4EEvPKT_S4_PS2_i, .Lfunc_end5-_Z14LLGemm1_kernelIN3c108BFloat16ELi4EEvPKT_S4_PS2_i
                                        ; -- End function
	.set _Z14LLGemm1_kernelIN3c108BFloat16ELi4EEvPKT_S4_PS2_i.num_vgpr, 41
	.set _Z14LLGemm1_kernelIN3c108BFloat16ELi4EEvPKT_S4_PS2_i.num_agpr, 0
	.set _Z14LLGemm1_kernelIN3c108BFloat16ELi4EEvPKT_S4_PS2_i.numbered_sgpr, 16
	.set _Z14LLGemm1_kernelIN3c108BFloat16ELi4EEvPKT_S4_PS2_i.num_named_barrier, 0
	.set _Z14LLGemm1_kernelIN3c108BFloat16ELi4EEvPKT_S4_PS2_i.private_seg_size, 0
	.set _Z14LLGemm1_kernelIN3c108BFloat16ELi4EEvPKT_S4_PS2_i.uses_vcc, 1
	.set _Z14LLGemm1_kernelIN3c108BFloat16ELi4EEvPKT_S4_PS2_i.uses_flat_scratch, 0
	.set _Z14LLGemm1_kernelIN3c108BFloat16ELi4EEvPKT_S4_PS2_i.has_dyn_sized_stack, 0
	.set _Z14LLGemm1_kernelIN3c108BFloat16ELi4EEvPKT_S4_PS2_i.has_recursion, 0
	.set _Z14LLGemm1_kernelIN3c108BFloat16ELi4EEvPKT_S4_PS2_i.has_indirect_call, 0
	.section	.AMDGPU.csdata,"",@progbits
; Kernel info:
; codeLenInByte = 3128
; TotalNumSgprs: 18
; NumVgprs: 41
; ScratchSize: 0
; MemoryBound: 0
; FloatMode: 240
; IeeeMode: 1
; LDSByteSize: 512 bytes/workgroup (compile time only)
; SGPRBlocks: 0
; VGPRBlocks: 5
; NumSGPRsForWavesPerEU: 18
; NumVGPRsForWavesPerEU: 41
; Occupancy: 16
; WaveLimiterHint : 0
; COMPUTE_PGM_RSRC2:SCRATCH_EN: 0
; COMPUTE_PGM_RSRC2:USER_SGPR: 6
; COMPUTE_PGM_RSRC2:TRAP_HANDLER: 0
; COMPUTE_PGM_RSRC2:TGID_X_EN: 1
; COMPUTE_PGM_RSRC2:TGID_Y_EN: 0
; COMPUTE_PGM_RSRC2:TGID_Z_EN: 0
; COMPUTE_PGM_RSRC2:TIDIG_COMP_CNT: 0
	.section	.text._Z14LLGemm1_kernelIN3c108BFloat16ELi8EEvPKT_S4_PS2_i,"axG",@progbits,_Z14LLGemm1_kernelIN3c108BFloat16ELi8EEvPKT_S4_PS2_i,comdat
	.protected	_Z14LLGemm1_kernelIN3c108BFloat16ELi8EEvPKT_S4_PS2_i ; -- Begin function _Z14LLGemm1_kernelIN3c108BFloat16ELi8EEvPKT_S4_PS2_i
	.globl	_Z14LLGemm1_kernelIN3c108BFloat16ELi8EEvPKT_S4_PS2_i
	.p2align	8
	.type	_Z14LLGemm1_kernelIN3c108BFloat16ELi8EEvPKT_S4_PS2_i,@function
_Z14LLGemm1_kernelIN3c108BFloat16ELi8EEvPKT_S4_PS2_i: ; @_Z14LLGemm1_kernelIN3c108BFloat16ELi8EEvPKT_S4_PS2_i
; %bb.0:
	s_clause 0x2
	s_load_dword s0, s[4:5], 0x18
	s_load_dwordx4 s[8:11], s[4:5], 0x0
	s_load_dwordx2 s[2:3], s[4:5], 0x10
	v_lshlrev_b32_e32 v37, 3, v0
                                        ; implicit-def: $vgpr17
                                        ; implicit-def: $vgpr13
                                        ; implicit-def: $vgpr9
                                        ; implicit-def: $vgpr5
                                        ; implicit-def: $vgpr1
                                        ; implicit-def: $vgpr41
                                        ; implicit-def: $vgpr24
                                        ; implicit-def: $vgpr42
                                        ; implicit-def: $vgpr44
                                        ; implicit-def: $vgpr45
                                        ; implicit-def: $vgpr43
                                        ; implicit-def: $vgpr28
                                        ; implicit-def: $vgpr46
                                        ; implicit-def: $vgpr47
                                        ; implicit-def: $vgpr48
                                        ; implicit-def: $vgpr49
                                        ; implicit-def: $vgpr32
                                        ; implicit-def: $vgpr50
                                        ; implicit-def: $vgpr38
                                        ; implicit-def: $vgpr40
                                        ; implicit-def: $vgpr36
	s_waitcnt lgkmcnt(0)
	v_cmp_gt_i32_e32 vcc_lo, s0, v37
	s_and_saveexec_b32 s1, vcc_lo
	s_cbranch_execz .LBB6_2
; %bb.1:
	s_mul_i32 s7, s6, s0
	v_mov_b32_e32 v2, 0
	s_and_b32 s7, s7, 0x1fffffff
	s_lshr_b32 s12, s0, 3
	v_add_nc_u32_e32 v1, s7, v0
	s_mov_b32 s13, 0
	v_lshlrev_b32_e32 v33, 4, v0
	s_lshl_b64 s[14:15], s[12:13], 4
	v_lshlrev_b64 v[3:4], 4, v[1:2]
	v_add3_u32 v1, s12, s12, v1
	v_lshlrev_b64 v[5:6], 4, v[1:2]
	v_add_nc_u32_e32 v1, s12, v1
	v_add_co_u32 v3, s0, s8, v3
	v_add_co_ci_u32_e64 v4, null, s9, v4, s0
	v_lshlrev_b64 v[7:8], 4, v[1:2]
	v_add_nc_u32_e32 v1, s12, v1
	v_add_co_u32 v9, s0, v3, s14
	v_add_co_ci_u32_e64 v10, null, s15, v4, s0
	v_add_co_u32 v5, s0, s8, v5
	v_lshlrev_b64 v[11:12], 4, v[1:2]
	v_add_nc_u32_e32 v1, s12, v1
	v_add_co_ci_u32_e64 v6, null, s9, v6, s0
	v_add_co_u32 v7, s0, s8, v7
	v_add_co_ci_u32_e64 v8, null, s9, v8, s0
	s_clause 0x3
	global_load_dwordx4 v[29:32], v[3:4], off slc
	global_load_dwordx4 v[25:28], v[9:10], off slc
	;; [unrolled: 1-line block ×4, first 2 shown]
	v_lshlrev_b64 v[3:4], 4, v[1:2]
	v_add_nc_u32_e32 v1, s12, v1
	v_add_co_u32 v5, s0, s8, v11
	v_add_co_ci_u32_e64 v6, null, s9, v12, s0
	v_lshlrev_b64 v[7:8], 4, v[1:2]
	v_add_nc_u32_e32 v1, s12, v1
	v_add_co_u32 v3, s0, s8, v3
	v_add_co_ci_u32_e64 v4, null, s9, v4, s0
	v_lshlrev_b64 v[1:2], 4, v[1:2]
	v_add_co_u32 v7, s0, s8, v7
	v_add_co_ci_u32_e64 v8, null, s9, v8, s0
	v_add_co_u32 v1, s0, s8, v1
	v_add_co_ci_u32_e64 v2, null, s9, v2, s0
	s_clause 0x3
	global_load_dwordx4 v[13:16], v[5:6], off slc
	global_load_dwordx4 v[9:12], v[3:4], off slc
	;; [unrolled: 1-line block ×4, first 2 shown]
	global_load_dwordx4 v[33:36], v33, s[10:11]
	s_waitcnt vmcnt(8)
	v_lshrrev_b32_e32 v40, 16, v29
	v_lshrrev_b32_e32 v38, 16, v30
	v_lshrrev_b32_e32 v50, 16, v31
	v_lshrrev_b32_e32 v49, 16, v32
	s_waitcnt vmcnt(7)
	v_lshrrev_b32_e32 v48, 16, v25
	v_lshrrev_b32_e32 v47, 16, v26
	v_lshrrev_b32_e32 v46, 16, v27
	v_lshrrev_b32_e32 v43, 16, v28
	;; [unrolled: 5-line block ×3, first 2 shown]
.LBB6_2:
	s_or_b32 exec_lo, exec_lo, s1
	v_lshlrev_b32_e32 v29, 16, v29
	s_waitcnt vmcnt(0)
	v_lshlrev_b32_e32 v39, 16, v33
	v_lshlrev_b32_e32 v51, 16, v40
	v_and_b32_e32 v40, 0xffff0000, v33
	v_lshlrev_b32_e32 v33, 16, v34
	v_lshlrev_b32_e32 v53, 16, v38
	v_mul_f32_e32 v29, v39, v29
	v_and_b32_e32 v38, 0xffff0000, v34
	v_mul_f32_e32 v51, v40, v51
	v_lshlrev_b32_e32 v30, 16, v30
	v_lshlrev_b32_e32 v56, 16, v31
	v_bfe_u32 v52, v29, 16, 1
	v_or_b32_e32 v34, 0x400000, v29
	v_bfe_u32 v54, v51, 16, 1
	v_cmp_u_f32_e64 s0, v29, v29
	v_or_b32_e32 v55, 0x400000, v51
	v_add3_u32 v52, v52, v29, 0x7fff
	v_lshlrev_b32_e32 v31, 16, v35
	v_add3_u32 v54, v54, v51, 0x7fff
	v_lshlrev_b32_e32 v25, 16, v25
	v_lshlrev_b32_e32 v48, 16, v48
	v_cndmask_b32_e64 v29, v52, v34, s0
	v_cmp_u_f32_e64 s0, v51, v51
	v_and_b32_e32 v34, 0xffff0000, v35
	v_mul_f32_e32 v25, v39, v25
	v_mul_f32_e32 v48, v40, v48
	v_and_b32_e32 v52, 0xffff0000, v29
	v_cndmask_b32_e64 v51, v54, v55, s0
	v_lshlrev_b32_e32 v29, 16, v36
	v_lshlrev_b32_e32 v50, 16, v50
	;; [unrolled: 1-line block ×3, first 2 shown]
	v_fmac_f32_e32 v52, v30, v33
	v_and_b32_e32 v35, 0xffff0000, v51
	v_and_b32_e32 v30, 0xffff0000, v36
	v_lshlrev_b32_e32 v32, 16, v32
	v_lshlrev_b32_e32 v49, 16, v49
	v_bfe_u32 v36, v52, 16, 1
	v_fmac_f32_e32 v35, v53, v38
	v_or_b32_e32 v53, 0x400000, v52
	v_cmp_u_f32_e64 s0, v52, v52
	v_lshlrev_b32_e32 v47, 16, v47
	v_add3_u32 v36, v36, v52, 0x7fff
	v_bfe_u32 v51, v35, 16, 1
	v_or_b32_e32 v54, 0x400000, v35
	v_or_b32_e32 v52, 0x400000, v25
	v_lshlrev_b32_e32 v27, 16, v27
	v_cndmask_b32_e64 v36, v36, v53, s0
	v_add3_u32 v51, v51, v35, 0x7fff
	v_cmp_u_f32_e64 s0, v35, v35
	v_bfe_u32 v53, v48, 16, 1
	v_lshlrev_b32_e32 v21, 16, v21
	v_and_b32_e32 v36, 0xffff0000, v36
	v_lshlrev_b32_e32 v28, 16, v28
	v_cndmask_b32_e64 v35, v51, v54, s0
	v_bfe_u32 v51, v25, 16, 1
	v_cmp_u_f32_e64 s0, v25, v25
	v_fmac_f32_e32 v36, v56, v31
	v_or_b32_e32 v54, 0x400000, v48
	v_and_b32_e32 v35, 0xffff0000, v35
	v_add3_u32 v51, v51, v25, 0x7fff
	v_mul_f32_e32 v21, v39, v21
	v_lshlrev_b32_e32 v23, 16, v23
	v_lshlrev_b32_e32 v24, 16, v24
	v_fmac_f32_e32 v35, v50, v34
	v_add3_u32 v50, v53, v48, 0x7fff
	v_cndmask_b32_e64 v25, v51, v52, s0
	v_bfe_u32 v51, v36, 16, 1
	v_cmp_u_f32_e64 s0, v48, v48
	v_bfe_u32 v52, v35, 16, 1
	v_or_b32_e32 v53, 0x400000, v35
	v_and_b32_e32 v25, 0xffff0000, v25
	v_add3_u32 v51, v51, v36, 0x7fff
	v_cndmask_b32_e64 v48, v50, v54, s0
	v_or_b32_e32 v50, 0x400000, v36
	v_cmp_u_f32_e64 s0, v36, v36
	v_add3_u32 v52, v52, v35, 0x7fff
	v_fmac_f32_e32 v25, v26, v33
	v_and_b32_e32 v26, 0xffff0000, v48
	v_cndmask_b32_e64 v36, v51, v50, s0
	v_cmp_u_f32_e64 s0, v35, v35
	v_bfe_u32 v48, v25, 16, 1
	v_fmac_f32_e32 v26, v47, v38
	v_and_b32_e32 v36, 0xffff0000, v36
	v_cndmask_b32_e64 v35, v52, v53, s0
	v_add3_u32 v47, v48, v25, 0x7fff
	v_cmp_u_f32_e64 s0, v25, v25
	v_bfe_u32 v48, v26, 16, 1
	v_fmac_f32_e32 v36, v32, v29
	v_and_b32_e32 v35, 0xffff0000, v35
	v_or_b32_e32 v32, 0x400000, v25
	v_add3_u32 v48, v48, v26, 0x7fff
	v_fmac_f32_e32 v35, v49, v30
	v_bfe_u32 v49, v36, 16, 1
	v_cndmask_b32_e64 v25, v47, v32, s0
	v_cmp_u_f32_e64 s0, v26, v26
	v_or_b32_e32 v32, 0x400000, v36
	v_bfe_u32 v50, v35, 16, 1
	v_add3_u32 v47, v49, v36, 0x7fff
	v_and_b32_e32 v25, 0xffff0000, v25
	v_or_b32_e32 v51, 0x400000, v35
	v_add3_u32 v49, v50, v35, 0x7fff
	v_or_b32_e32 v50, 0x400000, v26
	v_fmac_f32_e32 v25, v27, v31
	v_cndmask_b32_e64 v26, v48, v50, s0
	v_cmp_u_f32_e64 s0, v36, v36
	v_bfe_u32 v36, v25, 16, 1
	v_and_b32_e32 v26, 0xffff0000, v26
	v_cndmask_b32_e64 v32, v47, v32, s0
	v_cmp_u_f32_e64 s0, v35, v35
	v_lshlrev_b32_e32 v35, 16, v46
	v_add3_u32 v36, v36, v25, 0x7fff
	v_and_b32_e32 v32, 0xffff0000, v32
	v_cndmask_b32_e64 v27, v49, v51, s0
	v_fmac_f32_e32 v26, v35, v34
	v_lshlrev_b32_e32 v35, 16, v45
	v_or_b32_e32 v45, 0x400000, v25
	v_cmp_u_f32_e64 s0, v25, v25
	v_and_b32_e32 v27, 0xffff0000, v27
	v_bfe_u32 v46, v26, 16, 1
	v_mul_f32_e32 v35, v40, v35
	v_cndmask_b32_e64 v25, v36, v45, s0
	v_bfe_u32 v36, v21, 16, 1
	v_add_f32_e32 v27, v32, v27
	v_add3_u32 v32, v46, v26, 0x7fff
	v_bfe_u32 v45, v35, 16, 1
	v_or_b32_e32 v46, 0x400000, v21
	v_add3_u32 v36, v36, v21, 0x7fff
	v_cmp_u_f32_e64 s0, v21, v21
	v_and_b32_e32 v25, 0xffff0000, v25
	v_add3_u32 v45, v45, v35, 0x7fff
	v_or_b32_e32 v47, 0x400000, v35
	v_cndmask_b32_e64 v21, v36, v46, s0
	v_cmp_u_f32_e64 s0, v35, v35
	v_fmac_f32_e32 v25, v28, v29
	v_or_b32_e32 v36, 0x400000, v26
	v_and_b32_e32 v35, 0xffff0000, v21
	v_cndmask_b32_e64 v28, v45, v47, s0
	v_lshlrev_b32_e32 v21, 16, v22
	v_cmp_u_f32_e64 s0, v26, v26
	v_and_b32_e32 v26, 0xffff0000, v28
	v_lshlrev_b32_e32 v28, 16, v44
	v_fmac_f32_e32 v35, v21, v33
	v_cndmask_b32_e64 v22, v32, v36, s0
	v_bfe_u32 v32, v25, 16, 1
	v_cndmask_b32_e32 v21, 0, v27, vcc_lo
	v_fmac_f32_e32 v26, v28, v38
	v_bfe_u32 v27, v35, 16, 1
	v_lshlrev_b32_e32 v36, 16, v43
	v_add3_u32 v28, v32, v25, 0x7fff
	v_or_b32_e32 v43, 0x400000, v35
	v_bfe_u32 v32, v26, 16, 1
	v_add3_u32 v27, v27, v35, 0x7fff
	v_cmp_u_f32_e64 s0, v35, v35
	v_and_b32_e32 v22, 0xffff0000, v22
	v_or_b32_e32 v45, 0x400000, v26
	v_add3_u32 v32, v32, v26, 0x7fff
	v_cndmask_b32_e64 v27, v27, v43, s0
	v_cmp_u_f32_e64 s0, v26, v26
	v_fmac_f32_e32 v22, v36, v30
	v_or_b32_e32 v36, 0x400000, v25
	v_and_b32_e32 v27, 0xffff0000, v27
	v_cndmask_b32_e64 v26, v32, v45, s0
	v_bfe_u32 v44, v22, 16, 1
	v_cmp_u_f32_e64 s0, v25, v25
	v_or_b32_e32 v43, 0x400000, v22
	v_fmac_f32_e32 v27, v23, v31
	v_and_b32_e32 v23, 0xffff0000, v26
	v_and_b32_e32 v26, 0xffff0000, v17
	v_add3_u32 v35, v44, v22, 0x7fff
	v_cndmask_b32_e64 v25, v28, v36, s0
	v_cmp_u_f32_e64 s0, v22, v22
	v_lshlrev_b32_e32 v28, 16, v42
	v_lshlrev_b32_e32 v17, 16, v17
	v_bfe_u32 v32, v27, 16, 1
	v_mul_f32_e32 v26, v40, v26
	v_cndmask_b32_e64 v22, v35, v43, s0
	v_fmac_f32_e32 v23, v28, v34
	v_mul_f32_e32 v17, v39, v17
	v_add3_u32 v28, v32, v27, 0x7fff
	v_or_b32_e32 v32, 0x400000, v27
	v_bfe_u32 v35, v26, 16, 1
	v_cmp_u_f32_e64 s0, v27, v27
	v_bfe_u32 v36, v23, 16, 1
	v_bfe_u32 v42, v17, 16, 1
	v_and_b32_e32 v25, 0xffff0000, v25
	v_and_b32_e32 v22, 0xffff0000, v22
	v_cndmask_b32_e64 v27, v28, v32, s0
	v_add3_u32 v28, v35, v26, 0x7fff
	v_or_b32_e32 v32, 0x400000, v26
	v_cmp_u_f32_e64 s0, v26, v26
	v_add3_u32 v35, v36, v23, 0x7fff
	v_add3_u32 v36, v42, v17, 0x7fff
	v_or_b32_e32 v42, 0x400000, v17
	v_and_b32_e32 v27, 0xffff0000, v27
	v_cndmask_b32_e64 v26, v28, v32, s0
	v_cmp_u_f32_e64 s0, v17, v17
	v_and_b32_e32 v28, 0xffff0000, v18
	v_or_b32_e32 v32, 0x400000, v23
	v_lshlrev_b32_e32 v18, 16, v18
	v_and_b32_e32 v26, 0xffff0000, v26
	v_cndmask_b32_e64 v17, v36, v42, s0
	v_cmp_u_f32_e64 s0, v23, v23
	v_fmac_f32_e32 v27, v24, v29
	v_add_f32_e32 v22, v25, v22
	v_fmac_f32_e32 v26, v28, v38
	v_and_b32_e32 v17, 0xffff0000, v17
	v_cndmask_b32_e64 v23, v35, v32, s0
	v_lshlrev_b32_e32 v28, 16, v41
	v_bfe_u32 v24, v26, 16, 1
	v_fmac_f32_e32 v17, v18, v33
	v_and_b32_e32 v23, 0xffff0000, v23
	v_or_b32_e32 v35, 0x400000, v26
	v_cmp_u_f32_e64 s0, v26, v26
	v_add3_u32 v24, v24, v26, 0x7fff
	v_bfe_u32 v32, v17, 16, 1
	v_bfe_u32 v18, v27, 16, 1
	v_fmac_f32_e32 v23, v28, v30
	v_or_b32_e32 v26, 0x400000, v27
	v_cndmask_b32_e64 v24, v24, v35, s0
	v_add3_u32 v28, v32, v17, 0x7fff
	v_or_b32_e32 v32, 0x400000, v17
	v_cmp_u_f32_e64 s0, v17, v17
	v_add3_u32 v18, v18, v27, 0x7fff
	v_bfe_u32 v35, v23, 16, 1
	v_and_b32_e32 v24, 0xffff0000, v24
	v_cndmask_b32_e64 v17, v28, v32, s0
	v_and_b32_e32 v28, 0xffff0000, v19
	v_cmp_u_f32_e64 s0, v27, v27
	v_or_b32_e32 v27, 0x400000, v23
	v_fmac_f32_e32 v24, v28, v34
	v_cndmask_b32_e64 v18, v18, v26, s0
	v_add3_u32 v26, v35, v23, 0x7fff
	v_cmp_u_f32_e64 s0, v23, v23
	v_and_b32_e32 v28, 0xffff0000, v17
	v_lshlrev_b32_e32 v17, 16, v19
	v_bfe_u32 v23, v24, 16, 1
	v_and_b32_e32 v18, 0xffff0000, v18
	v_cndmask_b32_e64 v19, v26, v27, s0
	v_or_b32_e32 v25, 0x400000, v24
	v_fmac_f32_e32 v28, v17, v31
	v_add3_u32 v23, v23, v24, 0x7fff
	v_cmp_u_f32_e64 s0, v24, v24
	v_and_b32_e32 v19, 0xffff0000, v19
	v_cndmask_b32_e32 v17, 0, v22, vcc_lo
	v_bfe_u32 v22, v28, 16, 1
	v_or_b32_e32 v24, 0x400000, v28
	v_add_f32_e32 v18, v18, v19
	v_cndmask_b32_e64 v19, v23, v25, s0
	v_lshlrev_b32_e32 v23, 16, v13
	v_add3_u32 v22, v22, v28, 0x7fff
	v_and_b32_e32 v13, 0xffff0000, v13
	v_cmp_u_f32_e64 s0, v28, v28
	v_and_b32_e32 v19, 0xffff0000, v19
	v_mul_f32_e32 v23, v39, v23
	v_and_b32_e32 v25, 0xffff0000, v20
	v_mul_f32_e32 v26, v40, v13
	v_cndmask_b32_e64 v22, v22, v24, s0
	v_cndmask_b32_e32 v13, 0, v18, vcc_lo
	v_bfe_u32 v24, v23, 16, 1
	v_fmac_f32_e32 v19, v25, v30
	v_bfe_u32 v18, v26, 16, 1
	v_and_b32_e32 v22, 0xffff0000, v22
	v_or_b32_e32 v25, 0x400000, v23
	v_add3_u32 v24, v24, v23, 0x7fff
	v_lshlrev_b32_e32 v20, 16, v20
	v_cmp_u_f32_e64 s0, v23, v23
	v_add3_u32 v18, v18, v26, 0x7fff
	v_or_b32_e32 v27, 0x400000, v26
	v_fmac_f32_e32 v22, v20, v29
	v_cndmask_b32_e64 v23, v24, v25, s0
	v_cmp_u_f32_e64 s0, v26, v26
	v_lshlrev_b32_e32 v24, 16, v14
	v_bfe_u32 v20, v19, 16, 1
	v_bfe_u32 v25, v22, 16, 1
	v_and_b32_e32 v23, 0xffff0000, v23
	v_cndmask_b32_e64 v18, v18, v27, s0
	v_and_b32_e32 v14, 0xffff0000, v14
	v_cmp_u_f32_e64 s0, v22, v22
	v_add3_u32 v20, v20, v19, 0x7fff
	v_fmac_f32_e32 v23, v24, v33
	v_and_b32_e32 v18, 0xffff0000, v18
	v_add3_u32 v24, v25, v22, 0x7fff
	v_or_b32_e32 v25, 0x400000, v22
	v_bfe_u32 v26, v23, 16, 1
	v_fmac_f32_e32 v18, v14, v38
	v_or_b32_e32 v14, 0x400000, v19
	v_cndmask_b32_e64 v22, v24, v25, s0
	v_cmp_u_f32_e64 s0, v19, v19
	v_add3_u32 v19, v26, v23, 0x7fff
	v_bfe_u32 v24, v18, 16, 1
	v_or_b32_e32 v25, 0x400000, v18
	v_and_b32_e32 v22, 0xffff0000, v22
	v_cndmask_b32_e64 v14, v20, v14, s0
	v_or_b32_e32 v20, 0x400000, v23
	v_cmp_u_f32_e64 s0, v23, v23
	v_add3_u32 v24, v24, v18, 0x7fff
	v_lshlrev_b32_e32 v23, 16, v15
	v_and_b32_e32 v14, 0xffff0000, v14
	v_and_b32_e32 v15, 0xffff0000, v15
	v_cndmask_b32_e64 v19, v19, v20, s0
	v_cmp_u_f32_e64 s0, v18, v18
	v_and_b32_e32 v20, 0xffff0000, v9
	v_add_f32_e32 v14, v22, v14
	v_lshlrev_b32_e32 v22, 16, v9
	v_and_b32_e32 v19, 0xffff0000, v19
	v_cndmask_b32_e64 v18, v24, v25, s0
	v_mul_f32_e32 v20, v40, v20
	v_cndmask_b32_e32 v9, 0, v14, vcc_lo
	v_and_b32_e32 v26, 0xffff0000, v10
	v_fmac_f32_e32 v19, v23, v31
	v_and_b32_e32 v18, 0xffff0000, v18
	v_bfe_u32 v23, v20, 16, 1
	v_cmp_u_f32_e64 s0, v20, v20
	v_lshlrev_b32_e32 v10, 16, v10
	v_bfe_u32 v14, v19, 16, 1
	v_fmac_f32_e32 v18, v15, v34
	v_mul_f32_e32 v15, v39, v22
	v_add3_u32 v22, v23, v20, 0x7fff
	v_or_b32_e32 v23, 0x400000, v20
	v_add3_u32 v14, v14, v19, 0x7fff
	v_bfe_u32 v24, v18, 16, 1
	v_bfe_u32 v25, v15, 16, 1
	v_cndmask_b32_e64 v20, v22, v23, s0
	v_or_b32_e32 v23, 0x400000, v18
	v_add3_u32 v22, v24, v18, 0x7fff
	v_cmp_u_f32_e64 s0, v18, v18
	v_add3_u32 v24, v25, v15, 0x7fff
	v_or_b32_e32 v25, 0x400000, v15
	v_and_b32_e32 v20, 0xffff0000, v20
	v_cndmask_b32_e64 v18, v22, v23, s0
	v_cmp_u_f32_e64 s0, v15, v15
	v_or_b32_e32 v22, 0x400000, v19
	v_fmac_f32_e32 v20, v26, v38
	v_and_b32_e32 v23, 0xffff0000, v16
	v_and_b32_e32 v18, 0xffff0000, v18
	v_cndmask_b32_e64 v15, v24, v25, s0
	v_cmp_u_f32_e64 s0, v19, v19
	v_bfe_u32 v24, v20, 16, 1
	v_or_b32_e32 v19, 0x400000, v20
	v_lshlrev_b32_e32 v16, 16, v16
	v_and_b32_e32 v15, 0xffff0000, v15
	v_cndmask_b32_e64 v14, v14, v22, s0
	v_cmp_u_f32_e64 s0, v20, v20
	v_fmac_f32_e32 v18, v23, v30
	v_fmac_f32_e32 v15, v10, v33
	v_add3_u32 v10, v24, v20, 0x7fff
	v_and_b32_e32 v14, 0xffff0000, v14
	v_bfe_u32 v22, v15, 16, 1
	v_cndmask_b32_e64 v10, v10, v19, s0
	v_fmac_f32_e32 v14, v16, v29
	v_bfe_u32 v19, v18, 16, 1
	v_or_b32_e32 v20, 0x400000, v15
	v_add3_u32 v16, v22, v15, 0x7fff
	v_and_b32_e32 v22, 0xffff0000, v10
	v_and_b32_e32 v10, 0xffff0000, v11
	v_bfe_u32 v23, v14, 16, 1
	v_cmp_u_f32_e64 s0, v15, v15
	v_lshlrev_b32_e32 v11, 16, v11
	v_fmac_f32_e32 v22, v10, v34
	v_add3_u32 v10, v23, v14, 0x7fff
	v_cndmask_b32_e64 v15, v16, v20, s0
	v_add3_u32 v16, v19, v18, 0x7fff
	v_or_b32_e32 v19, 0x400000, v14
	v_cmp_u_f32_e64 s0, v14, v14
	v_bfe_u32 v20, v22, 16, 1
	v_and_b32_e32 v15, 0xffff0000, v15
	v_or_b32_e32 v23, 0x400000, v18
	v_or_b32_e32 v14, 0x400000, v22
	v_cndmask_b32_e64 v10, v10, v19, s0
	v_cmp_u_f32_e64 s0, v18, v18
	v_fmac_f32_e32 v15, v11, v31
	v_add3_u32 v11, v20, v22, 0x7fff
	v_and_b32_e32 v20, 0xffff0000, v12
	v_lshlrev_b32_e32 v12, 16, v12
	v_cndmask_b32_e64 v16, v16, v23, s0
	v_cmp_u_f32_e64 s0, v22, v22
	v_bfe_u32 v18, v15, 16, 1
	v_or_b32_e32 v19, 0x400000, v15
	v_and_b32_e32 v10, 0xffff0000, v10
	v_and_b32_e32 v16, 0xffff0000, v16
	v_cndmask_b32_e64 v11, v11, v14, s0
	v_and_b32_e32 v14, 0xffff0000, v5
	v_add3_u32 v18, v18, v15, 0x7fff
	v_lshlrev_b32_e32 v5, 16, v5
	v_cmp_u_f32_e64 s0, v15, v15
	v_and_b32_e32 v11, 0xffff0000, v11
	v_mul_f32_e32 v14, v40, v14
	v_mul_f32_e32 v5, v39, v5
	v_cndmask_b32_e64 v15, v18, v19, s0
	v_fmac_f32_e32 v11, v20, v30
	v_bfe_u32 v18, v14, 16, 1
	v_or_b32_e32 v20, 0x400000, v14
	v_bfe_u32 v19, v5, 16, 1
	v_cmp_u_f32_e64 s0, v14, v14
	v_or_b32_e32 v22, 0x400000, v5
	v_add3_u32 v18, v18, v14, 0x7fff
	v_and_b32_e32 v15, 0xffff0000, v15
	v_add3_u32 v19, v19, v5, 0x7fff
	v_cndmask_b32_e64 v14, v18, v20, s0
	v_cmp_u_f32_e64 s0, v5, v5
	v_bfe_u32 v18, v11, 16, 1
	v_fmac_f32_e32 v15, v12, v29
	v_lshlrev_b32_e32 v20, 16, v1
	v_and_b32_e32 v12, 0xffff0000, v14
	v_cndmask_b32_e64 v5, v19, v22, s0
	v_and_b32_e32 v14, 0xffff0000, v6
	v_lshlrev_b32_e32 v6, 16, v6
	v_add3_u32 v18, v18, v11, 0x7fff
	v_or_b32_e32 v19, 0x400000, v11
	v_and_b32_e32 v5, 0xffff0000, v5
	v_cmp_u_f32_e64 s0, v11, v11
	v_fmac_f32_e32 v12, v14, v38
	v_and_b32_e32 v1, 0xffff0000, v1
	v_mul_f32_e32 v20, v39, v20
	v_fmac_f32_e32 v5, v6, v33
	v_cndmask_b32_e64 v6, v18, v19, s0
	v_bfe_u32 v11, v12, 16, 1
	v_or_b32_e32 v23, 0x400000, v12
	v_mul_f32_e32 v1, v40, v1
	v_bfe_u32 v18, v5, 16, 1
	v_or_b32_e32 v22, 0x400000, v5
	v_cmp_u_f32_e64 s0, v5, v5
	v_add3_u32 v11, v11, v12, 0x7fff
	v_or_b32_e32 v24, 0x400000, v1
	v_add3_u32 v18, v18, v5, 0x7fff
	v_bfe_u32 v14, v15, 16, 1
	v_or_b32_e32 v19, 0x400000, v15
	v_cndmask_b32_e64 v5, v18, v22, s0
	v_bfe_u32 v18, v20, 16, 1
	v_cmp_u_f32_e64 s0, v12, v12
	v_bfe_u32 v12, v1, 16, 1
	v_or_b32_e32 v22, 0x400000, v20
	v_add3_u32 v14, v14, v15, 0x7fff
	v_add3_u32 v18, v18, v20, 0x7fff
	v_cndmask_b32_e64 v11, v11, v23, s0
	v_cmp_u_f32_e64 s0, v20, v20
	v_add3_u32 v12, v12, v1, 0x7fff
	v_lshlrev_b32_e32 v23, 16, v7
	v_and_b32_e32 v7, 0xffff0000, v7
	v_and_b32_e32 v11, 0xffff0000, v11
	v_cndmask_b32_e64 v18, v18, v22, s0
	v_cmp_u_f32_e64 s0, v1, v1
	v_and_b32_e32 v5, 0xffff0000, v5
	v_fmac_f32_e32 v11, v7, v34
	v_cndmask_b32_e64 v1, v12, v24, s0
	v_and_b32_e32 v12, 0xffff0000, v18
	v_lshlrev_b32_e32 v18, 16, v2
	v_and_b32_e32 v2, 0xffff0000, v2
	v_cmp_u_f32_e64 s0, v15, v15
	v_and_b32_e32 v1, 0xffff0000, v1
	v_or_b32_e32 v22, 0x400000, v11
	v_fmac_f32_e32 v12, v18, v33
	v_fmac_f32_e32 v5, v23, v31
	v_cndmask_b32_e64 v7, v14, v19, s0
	v_fmac_f32_e32 v1, v2, v38
	v_bfe_u32 v14, v11, 16, 1
	v_bfe_u32 v15, v12, 16, 1
	v_or_b32_e32 v19, 0x400000, v12
	v_cmp_u_f32_e64 s0, v12, v12
	v_bfe_u32 v18, v1, 16, 1
	v_or_b32_e32 v20, 0x400000, v1
	v_add3_u32 v15, v15, v12, 0x7fff
	v_add3_u32 v14, v14, v11, 0x7fff
	v_bfe_u32 v2, v5, 16, 1
	v_add3_u32 v18, v18, v1, 0x7fff
	v_and_b32_e32 v7, 0xffff0000, v7
	v_cndmask_b32_e64 v12, v15, v19, s0
	v_cmp_u_f32_e64 s0, v1, v1
	v_add3_u32 v2, v2, v5, 0x7fff
	v_or_b32_e32 v15, 0x400000, v5
	v_and_b32_e32 v12, 0xffff0000, v12
	v_cndmask_b32_e64 v1, v18, v20, s0
	v_cmp_u_f32_e64 s0, v11, v11
	v_and_b32_e32 v1, 0xffff0000, v1
	v_cndmask_b32_e64 v11, v14, v22, s0
	v_lshlrev_b32_e32 v14, 16, v3
	v_and_b32_e32 v3, 0xffff0000, v3
	v_cmp_u_f32_e64 s0, v5, v5
	v_and_b32_e32 v5, 0xffff0000, v6
	v_and_b32_e32 v11, 0xffff0000, v11
	v_fmac_f32_e32 v12, v14, v31
	v_and_b32_e32 v14, 0xffff0000, v8
	v_fmac_f32_e32 v1, v3, v34
	v_cndmask_b32_e64 v2, v2, v15, s0
	v_lshlrev_b32_e32 v8, 16, v8
	v_bfe_u32 v3, v12, 16, 1
	v_fmac_f32_e32 v11, v14, v30
	v_bfe_u32 v6, v1, 16, 1
	v_or_b32_e32 v14, 0x400000, v12
	v_cmp_u_f32_e64 s0, v12, v12
	v_add3_u32 v3, v3, v12, 0x7fff
	v_and_b32_e32 v2, 0xffff0000, v2
	v_add3_u32 v6, v6, v1, 0x7fff
	v_or_b32_e32 v15, 0x400000, v1
	v_add_f32_e32 v5, v7, v5
	v_cndmask_b32_e64 v3, v3, v14, s0
	v_cmp_u_f32_e64 s0, v1, v1
	v_fmac_f32_e32 v2, v8, v29
	v_lshlrev_b32_e32 v8, 16, v4
	v_and_b32_e32 v4, 0xffff0000, v4
	v_and_b32_e32 v3, 0xffff0000, v3
	v_cndmask_b32_e64 v1, v6, v15, s0
	v_bfe_u32 v6, v11, 16, 1
	v_bfe_u32 v12, v2, 16, 1
	v_cmp_u_f32_e64 s0, v11, v11
	v_fmac_f32_e32 v3, v8, v29
	v_and_b32_e32 v1, 0xffff0000, v1
	v_add3_u32 v6, v6, v11, 0x7fff
	v_or_b32_e32 v8, 0x400000, v11
	v_add3_u32 v12, v12, v2, 0x7fff
	v_bfe_u32 v14, v3, 16, 1
	v_fmac_f32_e32 v1, v4, v30
	v_or_b32_e32 v4, 0x400000, v2
	v_cndmask_b32_e64 v6, v6, v8, s0
	v_cmp_u_f32_e64 s0, v2, v2
	v_or_b32_e32 v11, 0x400000, v3
	v_bfe_u32 v8, v1, 16, 1
	v_cndmask_b32_e32 v5, 0, v5, vcc_lo
	v_and_b32_e32 v6, 0xffff0000, v6
	v_cndmask_b32_e64 v2, v12, v4, s0
	v_add3_u32 v4, v14, v3, 0x7fff
	v_cmp_u_f32_e64 s0, v3, v3
	v_add3_u32 v8, v8, v1, 0x7fff
	v_or_b32_e32 v12, 0x400000, v1
	v_mbcnt_lo_u32_b32 v14, -1, 0
	v_and_b32_e32 v2, 0xffff0000, v2
	v_cndmask_b32_e64 v3, v4, v11, s0
	v_cmp_u_f32_e64 s0, v1, v1
	v_xor_b32_e32 v4, 16, v14
	v_add_f32_e32 v2, v2, v6
	v_and_b32_e32 v3, 0xffff0000, v3
	v_cndmask_b32_e64 v1, v8, v12, s0
	v_add_f32_e32 v8, v10, v16
	v_cmp_gt_i32_e64 s0, 32, v4
	v_cndmask_b32_e32 v6, 0, v2, vcc_lo
	v_xor_b32_e32 v18, 8, v14
	v_and_b32_e32 v1, 0xffff0000, v1
	v_xor_b32_e32 v20, 4, v14
	v_cndmask_b32_e64 v4, v14, v4, s0
	s_mov_b32 s0, exec_lo
	v_add_f32_e32 v3, v3, v1
	v_lshlrev_b32_e32 v1, 2, v4
	v_cndmask_b32_e32 v4, 0, v8, vcc_lo
	v_cndmask_b32_e32 v3, 0, v3, vcc_lo
	v_cmp_gt_i32_e32 vcc_lo, 32, v18
	ds_bpermute_b32 v2, v1, v21
	ds_bpermute_b32 v7, v1, v17
	;; [unrolled: 1-line block ×8, first 2 shown]
	v_cndmask_b32_e32 v18, v14, v18, vcc_lo
	v_cmp_gt_i32_e32 vcc_lo, 32, v20
	v_cndmask_b32_e32 v20, v14, v20, vcc_lo
	s_waitcnt lgkmcnt(7)
	v_add_f32_e32 v19, v21, v2
	s_waitcnt lgkmcnt(6)
	v_add_f32_e32 v7, v17, v7
	s_waitcnt lgkmcnt(5)
	v_add_f32_e32 v8, v13, v8
	s_waitcnt lgkmcnt(4)
	v_add_f32_e32 v9, v9, v10
	v_lshlrev_b32_e32 v2, 2, v18
	s_waitcnt lgkmcnt(3)
	v_add_f32_e32 v4, v4, v11
	s_waitcnt lgkmcnt(2)
	v_add_f32_e32 v5, v5, v12
	;; [unrolled: 2-line block ×4, first 2 shown]
	ds_bpermute_b32 v3, v2, v19
	ds_bpermute_b32 v11, v2, v7
	;; [unrolled: 1-line block ×8, first 2 shown]
	v_xor_b32_e32 v21, 2, v14
	v_cmp_gt_i32_e32 vcc_lo, 32, v21
	v_cndmask_b32_e32 v21, v14, v21, vcc_lo
	s_waitcnt lgkmcnt(7)
	v_add_f32_e32 v19, v19, v3
	s_waitcnt lgkmcnt(6)
	v_add_f32_e32 v7, v7, v11
	;; [unrolled: 2-line block ×4, first 2 shown]
	v_lshlrev_b32_e32 v3, 2, v20
	s_waitcnt lgkmcnt(3)
	v_add_f32_e32 v11, v4, v15
	s_waitcnt lgkmcnt(2)
	v_add_f32_e32 v5, v5, v16
	;; [unrolled: 2-line block ×4, first 2 shown]
	ds_bpermute_b32 v4, v3, v19
	ds_bpermute_b32 v12, v3, v7
	;; [unrolled: 1-line block ×8, first 2 shown]
	s_waitcnt lgkmcnt(7)
	v_add_f32_e32 v19, v19, v4
	s_waitcnt lgkmcnt(6)
	v_add_f32_e32 v7, v7, v12
	;; [unrolled: 2-line block ×4, first 2 shown]
	v_lshlrev_b32_e32 v4, 2, v21
	s_waitcnt lgkmcnt(3)
	v_add_f32_e32 v11, v11, v16
	s_waitcnt lgkmcnt(2)
	v_add_f32_e32 v5, v5, v17
	;; [unrolled: 2-line block ×4, first 2 shown]
	ds_bpermute_b32 v6, v4, v19
	ds_bpermute_b32 v10, v4, v7
	;; [unrolled: 1-line block ×8, first 2 shown]
	v_xor_b32_e32 v17, 1, v14
	v_cmp_gt_i32_e32 vcc_lo, 32, v17
	v_cndmask_b32_e32 v14, v14, v17, vcc_lo
	s_waitcnt lgkmcnt(7)
	v_add_f32_e32 v17, v19, v6
	s_waitcnt lgkmcnt(6)
	v_add_f32_e32 v18, v7, v10
	;; [unrolled: 2-line block ×4, first 2 shown]
	v_lshlrev_b32_e32 v6, 2, v14
	s_waitcnt lgkmcnt(3)
	v_add_f32_e32 v11, v11, v20
	s_waitcnt lgkmcnt(2)
	v_add_f32_e32 v10, v5, v21
	;; [unrolled: 2-line block ×4, first 2 shown]
	ds_bpermute_b32 v21, v6, v17
	ds_bpermute_b32 v22, v6, v18
	;; [unrolled: 1-line block ×8, first 2 shown]
	v_and_b32_e32 v7, 31, v0
	v_lshrrev_b32_e32 v5, 5, v0
	v_cmpx_gt_u32_e32 8, v7
	s_cbranch_execz .LBB6_4
; %bb.3:
	s_waitcnt lgkmcnt(7)
	v_add_f32_e32 v17, v17, v21
	s_waitcnt lgkmcnt(6)
	v_add_f32_e32 v18, v18, v22
	v_cmp_eq_u32_e32 vcc_lo, 1, v7
	s_waitcnt lgkmcnt(5)
	v_add_f32_e32 v19, v19, v23
	s_waitcnt lgkmcnt(4)
	v_add_f32_e32 v12, v12, v20
	;; [unrolled: 2-line block ×4, first 2 shown]
	v_cndmask_b32_e32 v17, v17, v18, vcc_lo
	v_cmp_eq_u32_e32 vcc_lo, 2, v7
	s_waitcnt lgkmcnt(1)
	v_add_f32_e32 v9, v9, v14
	s_waitcnt lgkmcnt(0)
	v_add_f32_e32 v8, v8, v13
	v_cndmask_b32_e32 v17, v17, v19, vcc_lo
	v_cmp_eq_u32_e32 vcc_lo, 3, v7
	v_cndmask_b32_e32 v12, v17, v12, vcc_lo
	v_cmp_eq_u32_e32 vcc_lo, 4, v7
	;; [unrolled: 2-line block ×4, first 2 shown]
	v_lshlrev_b32_e32 v11, 2, v5
	v_cndmask_b32_e32 v9, v10, v9, vcc_lo
	v_cmp_eq_u32_e32 vcc_lo, 7, v7
	v_lshl_or_b32 v10, v7, 7, v11
	v_cndmask_b32_e32 v8, v9, v8, vcc_lo
	ds_write_b32 v10, v8
.LBB6_4:
	s_or_b32 exec_lo, exec_lo, s0
	s_waitcnt lgkmcnt(0)
	s_barrier
	buffer_gl0_inv
	s_mov_b32 s0, exec_lo
	v_cmpx_gt_u32_e32 0x80, v0
	s_cbranch_execz .LBB6_9
; %bb.5:
	s_load_dword s0, s[4:5], 0x2c
	v_and_b32_e32 v8, 15, v0
	v_mov_b32_e32 v0, 0
	s_waitcnt lgkmcnt(0)
	s_and_b32 s0, 0xffff, s0
	s_lshr_b32 s0, s0, 5
	v_cmp_gt_u32_e32 vcc_lo, s0, v8
	s_and_saveexec_b32 s0, vcc_lo
; %bb.6:
	v_lshlrev_b32_e32 v0, 2, v8
	v_and_or_b32 v0, 0x1f80, v37, v0
	ds_read_b32 v0, v0
; %bb.7:
	s_or_b32 exec_lo, exec_lo, s0
	s_waitcnt lgkmcnt(0)
	ds_bpermute_b32 v2, v2, v0
	v_cmp_eq_u32_e32 vcc_lo, 0, v7
	s_waitcnt lgkmcnt(0)
	v_add_f32_e32 v0, v0, v2
	ds_bpermute_b32 v2, v3, v0
	s_waitcnt lgkmcnt(0)
	v_add_f32_e32 v0, v0, v2
	ds_bpermute_b32 v2, v4, v0
	;; [unrolled: 3-line block ×4, first 2 shown]
	s_and_b32 exec_lo, exec_lo, vcc_lo
	s_cbranch_execz .LBB6_9
; %bb.8:
	v_bfe_u32 v1, v2, 16, 1
	s_lshl_b32 s0, s6, 2
	s_waitcnt lgkmcnt(0)
	v_bfe_u32 v6, v0, 16, 1
	v_and_or_b32 v3, 0x7ffffffc, s0, v5
	v_or_b32_e32 v5, 0x400000, v2
	v_add3_u32 v1, v1, v2, 0x7fff
	v_cmp_u_f32_e32 vcc_lo, v2, v2
	v_mov_b32_e32 v4, 0
	v_add3_u32 v6, v6, v0, 0x7fff
	v_or_b32_e32 v7, 0x400000, v0
	v_cndmask_b32_e32 v2, v1, v5, vcc_lo
	v_cmp_u_f32_e32 vcc_lo, v0, v0
	v_lshlrev_b64 v[3:4], 2, v[3:4]
	v_cndmask_b32_e32 v5, v6, v7, vcc_lo
	v_add_co_u32 v0, vcc_lo, s2, v3
	v_add_co_ci_u32_e64 v1, null, s3, v4, vcc_lo
	v_perm_b32 v2, v5, v2, 0x7060302
	global_store_dword v[0:1], v2, off
.LBB6_9:
	s_endpgm
	.section	.rodata,"a",@progbits
	.p2align	6, 0x0
	.amdhsa_kernel _Z14LLGemm1_kernelIN3c108BFloat16ELi8EEvPKT_S4_PS2_i
		.amdhsa_group_segment_fixed_size 1024
		.amdhsa_private_segment_fixed_size 0
		.amdhsa_kernarg_size 288
		.amdhsa_user_sgpr_count 6
		.amdhsa_user_sgpr_private_segment_buffer 1
		.amdhsa_user_sgpr_dispatch_ptr 0
		.amdhsa_user_sgpr_queue_ptr 0
		.amdhsa_user_sgpr_kernarg_segment_ptr 1
		.amdhsa_user_sgpr_dispatch_id 0
		.amdhsa_user_sgpr_flat_scratch_init 0
		.amdhsa_user_sgpr_private_segment_size 0
		.amdhsa_wavefront_size32 1
		.amdhsa_uses_dynamic_stack 0
		.amdhsa_system_sgpr_private_segment_wavefront_offset 0
		.amdhsa_system_sgpr_workgroup_id_x 1
		.amdhsa_system_sgpr_workgroup_id_y 0
		.amdhsa_system_sgpr_workgroup_id_z 0
		.amdhsa_system_sgpr_workgroup_info 0
		.amdhsa_system_vgpr_workitem_id 0
		.amdhsa_next_free_vgpr 57
		.amdhsa_next_free_sgpr 16
		.amdhsa_reserve_vcc 1
		.amdhsa_reserve_flat_scratch 0
		.amdhsa_float_round_mode_32 0
		.amdhsa_float_round_mode_16_64 0
		.amdhsa_float_denorm_mode_32 3
		.amdhsa_float_denorm_mode_16_64 3
		.amdhsa_dx10_clamp 1
		.amdhsa_ieee_mode 1
		.amdhsa_fp16_overflow 0
		.amdhsa_workgroup_processor_mode 1
		.amdhsa_memory_ordered 1
		.amdhsa_forward_progress 1
		.amdhsa_shared_vgpr_count 0
		.amdhsa_exception_fp_ieee_invalid_op 0
		.amdhsa_exception_fp_denorm_src 0
		.amdhsa_exception_fp_ieee_div_zero 0
		.amdhsa_exception_fp_ieee_overflow 0
		.amdhsa_exception_fp_ieee_underflow 0
		.amdhsa_exception_fp_ieee_inexact 0
		.amdhsa_exception_int_div_zero 0
	.end_amdhsa_kernel
	.section	.text._Z14LLGemm1_kernelIN3c108BFloat16ELi8EEvPKT_S4_PS2_i,"axG",@progbits,_Z14LLGemm1_kernelIN3c108BFloat16ELi8EEvPKT_S4_PS2_i,comdat
.Lfunc_end6:
	.size	_Z14LLGemm1_kernelIN3c108BFloat16ELi8EEvPKT_S4_PS2_i, .Lfunc_end6-_Z14LLGemm1_kernelIN3c108BFloat16ELi8EEvPKT_S4_PS2_i
                                        ; -- End function
	.set _Z14LLGemm1_kernelIN3c108BFloat16ELi8EEvPKT_S4_PS2_i.num_vgpr, 57
	.set _Z14LLGemm1_kernelIN3c108BFloat16ELi8EEvPKT_S4_PS2_i.num_agpr, 0
	.set _Z14LLGemm1_kernelIN3c108BFloat16ELi8EEvPKT_S4_PS2_i.numbered_sgpr, 16
	.set _Z14LLGemm1_kernelIN3c108BFloat16ELi8EEvPKT_S4_PS2_i.num_named_barrier, 0
	.set _Z14LLGemm1_kernelIN3c108BFloat16ELi8EEvPKT_S4_PS2_i.private_seg_size, 0
	.set _Z14LLGemm1_kernelIN3c108BFloat16ELi8EEvPKT_S4_PS2_i.uses_vcc, 1
	.set _Z14LLGemm1_kernelIN3c108BFloat16ELi8EEvPKT_S4_PS2_i.uses_flat_scratch, 0
	.set _Z14LLGemm1_kernelIN3c108BFloat16ELi8EEvPKT_S4_PS2_i.has_dyn_sized_stack, 0
	.set _Z14LLGemm1_kernelIN3c108BFloat16ELi8EEvPKT_S4_PS2_i.has_recursion, 0
	.set _Z14LLGemm1_kernelIN3c108BFloat16ELi8EEvPKT_S4_PS2_i.has_indirect_call, 0
	.section	.AMDGPU.csdata,"",@progbits
; Kernel info:
; codeLenInByte = 5644
; TotalNumSgprs: 18
; NumVgprs: 57
; ScratchSize: 0
; MemoryBound: 0
; FloatMode: 240
; IeeeMode: 1
; LDSByteSize: 1024 bytes/workgroup (compile time only)
; SGPRBlocks: 0
; VGPRBlocks: 7
; NumSGPRsForWavesPerEU: 18
; NumVGPRsForWavesPerEU: 57
; Occupancy: 16
; WaveLimiterHint : 0
; COMPUTE_PGM_RSRC2:SCRATCH_EN: 0
; COMPUTE_PGM_RSRC2:USER_SGPR: 6
; COMPUTE_PGM_RSRC2:TRAP_HANDLER: 0
; COMPUTE_PGM_RSRC2:TGID_X_EN: 1
; COMPUTE_PGM_RSRC2:TGID_Y_EN: 0
; COMPUTE_PGM_RSRC2:TGID_Z_EN: 0
; COMPUTE_PGM_RSRC2:TIDIG_COMP_CNT: 0
	.section	.text._Z14LLGemm1_kernelIN3c108BFloat16ELi16EEvPKT_S4_PS2_i,"axG",@progbits,_Z14LLGemm1_kernelIN3c108BFloat16ELi16EEvPKT_S4_PS2_i,comdat
	.protected	_Z14LLGemm1_kernelIN3c108BFloat16ELi16EEvPKT_S4_PS2_i ; -- Begin function _Z14LLGemm1_kernelIN3c108BFloat16ELi16EEvPKT_S4_PS2_i
	.globl	_Z14LLGemm1_kernelIN3c108BFloat16ELi16EEvPKT_S4_PS2_i
	.p2align	8
	.type	_Z14LLGemm1_kernelIN3c108BFloat16ELi16EEvPKT_S4_PS2_i,@function
_Z14LLGemm1_kernelIN3c108BFloat16ELi16EEvPKT_S4_PS2_i: ; @_Z14LLGemm1_kernelIN3c108BFloat16ELi16EEvPKT_S4_PS2_i
; %bb.0:
	s_clause 0x2
	s_load_dword s0, s[4:5], 0x18
	s_load_dwordx4 s[8:11], s[4:5], 0x0
	s_load_dwordx2 s[2:3], s[4:5], 0x10
	v_lshlrev_b32_e32 v69, 3, v0
                                        ; implicit-def: $vgpr56
                                        ; implicit-def: $vgpr49
                                        ; implicit-def: $vgpr45
                                        ; implicit-def: $vgpr41
                                        ; implicit-def: $vgpr37
                                        ; implicit-def: $vgpr33
                                        ; implicit-def: $vgpr29
                                        ; implicit-def: $vgpr25
                                        ; implicit-def: $vgpr21
                                        ; implicit-def: $vgpr17
                                        ; implicit-def: $vgpr13
                                        ; implicit-def: $vgpr9
                                        ; implicit-def: $vgpr73
                                        ; implicit-def: $vgpr75
                                        ; implicit-def: $vgpr76
                                        ; implicit-def: $vgpr74
                                        ; implicit-def: $vgpr77
                                        ; implicit-def: $vgpr78
                                        ; implicit-def: $vgpr79
                                        ; implicit-def: $vgpr80
                                        ; implicit-def: $vgpr81
                                        ; implicit-def: $vgpr70
                                        ; implicit-def: $vgpr72
                                        ; implicit-def: $vgpr5
                                        ; implicit-def: $vgpr1
                                        ; implicit-def: $vgpr60
                                        ; implicit-def: $vgpr64
                                        ; implicit-def: $vgpr68
	s_waitcnt lgkmcnt(0)
	v_cmp_gt_i32_e32 vcc_lo, s0, v69
	s_and_saveexec_b32 s1, vcc_lo
	s_cbranch_execz .LBB7_2
; %bb.1:
	s_mul_i32 s7, s6, s0
	v_mov_b32_e32 v2, 0
	s_lshl_b32 s7, s7, 1
	s_lshr_b32 s12, s0, 3
	s_and_b32 s7, s7, 0x1ffffffe
	s_mov_b32 s13, 0
	v_add_nc_u32_e32 v1, s7, v0
	s_and_b32 s7, s0, -8
	s_lshl_b64 s[14:15], s[12:13], 4
	v_mov_b32_e32 v6, v2
	v_mov_b32_e32 v12, v2
	v_lshlrev_b64 v[3:4], 4, v[1:2]
	v_add3_u32 v5, s12, s12, v1
	v_add_nc_u32_e32 v1, s7, v1
	v_mov_b32_e32 v13, v2
	v_lshlrev_b32_e32 v67, 4, v0
	v_lshlrev_b64 v[6:7], 4, v[5:6]
	v_add_co_u32 v3, s0, s8, v3
	v_add_co_ci_u32_e64 v4, null, s9, v4, s0
	v_lshlrev_b64 v[10:11], 4, v[1:2]
	v_add_co_u32 v8, s0, v3, s14
	v_add_co_ci_u32_e64 v9, null, s15, v4, s0
	v_add_co_u32 v6, s0, s8, v6
	s_clause 0x1
	global_load_dwordx4 v[61:64], v[3:4], off slc
	global_load_dwordx4 v[57:60], v[8:9], off slc
	v_add_nc_u32_e32 v3, s12, v5
	v_mov_b32_e32 v4, v2
	v_add_co_ci_u32_e64 v7, null, s9, v7, s0
	v_add_co_u32 v16, s0, s8, v10
	v_add_nc_u32_e32 v8, s12, v3
	v_lshlrev_b64 v[14:15], 4, v[3:4]
	v_mov_b32_e32 v9, v2
	v_add_co_ci_u32_e64 v17, null, s9, v11, s0
	v_add_nc_u32_e32 v4, s12, v8
	v_mov_b32_e32 v5, v2
	v_add_co_u32 v14, s0, s8, v14
	v_add_co_ci_u32_e64 v15, null, s9, v15, s0
	v_add_nc_u32_e32 v11, s12, v4
	v_lshlrev_b64 v[8:9], 4, v[8:9]
	v_lshlrev_b64 v[18:19], 4, v[4:5]
	s_clause 0x1
	global_load_dwordx4 v[53:56], v[6:7], off slc
	global_load_dwordx4 v[49:52], v[14:15], off slc
	v_lshlrev_b64 v[5:6], 4, v[11:12]
	v_add_nc_u32_e32 v12, s12, v11
	v_add_co_u32 v3, s0, s8, v8
	v_add_co_ci_u32_e64 v4, null, s9, v9, s0
	v_lshl_add_u32 v1, s12, 1, v12
	v_lshlrev_b64 v[9:10], 4, v[12:13]
	v_add_co_u32 v7, s0, s8, v18
	v_add_co_ci_u32_e64 v8, null, s9, v19, s0
	v_lshlrev_b64 v[11:12], 4, v[1:2]
	v_add_nc_u32_e32 v1, s12, v1
	v_add_co_u32 v5, s0, s8, v5
	v_add_co_ci_u32_e64 v6, null, s9, v6, s0
	v_add_co_u32 v9, s0, s8, v9
	v_add_co_ci_u32_e64 v10, null, s9, v10, s0
	s_clause 0x1
	global_load_dwordx4 v[45:48], v[3:4], off slc
	global_load_dwordx4 v[41:44], v[7:8], off slc
	v_lshlrev_b64 v[3:4], 4, v[1:2]
	v_add_nc_u32_e32 v1, s12, v1
	s_clause 0x1
	global_load_dwordx4 v[37:40], v[5:6], off slc
	global_load_dwordx4 v[33:36], v[9:10], off slc
	v_add_co_u32 v5, s0, s8, v11
	v_add_co_ci_u32_e64 v6, null, s9, v12, s0
	v_lshlrev_b64 v[7:8], 4, v[1:2]
	v_add_nc_u32_e32 v1, s12, v1
	s_clause 0x1
	global_load_dwordx4 v[29:32], v[16:17], off slc
	global_load_dwordx4 v[25:28], v[5:6], off slc
	v_add_co_u32 v3, s0, s8, v3
	v_add_co_ci_u32_e64 v4, null, s9, v4, s0
	v_lshlrev_b64 v[5:6], 4, v[1:2]
	v_add_nc_u32_e32 v1, s12, v1
	v_add_co_u32 v7, s0, s8, v7
	v_add_co_ci_u32_e64 v8, null, s9, v8, s0
	v_lshlrev_b64 v[9:10], 4, v[1:2]
	v_add_nc_u32_e32 v1, s12, v1
	;; [unrolled: 4-line block ×3, first 2 shown]
	v_add_co_u32 v9, s0, s8, v9
	v_add_co_ci_u32_e64 v10, null, s9, v10, s0
	v_lshlrev_b64 v[1:2], 4, v[1:2]
	v_add_co_u32 v65, s0, s8, v11
	v_add_co_ci_u32_e64 v66, null, s9, v12, s0
	v_add_co_u32 v1, s0, s8, v1
	v_add_co_ci_u32_e64 v2, null, s9, v2, s0
	s_clause 0x5
	global_load_dwordx4 v[21:24], v[3:4], off slc
	global_load_dwordx4 v[17:20], v[7:8], off slc
	;; [unrolled: 1-line block ×6, first 2 shown]
	global_load_dwordx4 v[65:68], v67, s[10:11]
	s_waitcnt vmcnt(16)
	v_lshrrev_b32_e32 v72, 16, v61
	v_lshrrev_b32_e32 v70, 16, v62
	;; [unrolled: 1-line block ×4, first 2 shown]
	s_waitcnt vmcnt(15)
	v_lshrrev_b32_e32 v79, 16, v57
	v_lshrrev_b32_e32 v78, 16, v58
	v_lshrrev_b32_e32 v77, 16, v59
	v_lshrrev_b32_e32 v74, 16, v60
	s_waitcnt vmcnt(14)
	v_lshrrev_b32_e32 v76, 16, v53
	v_lshrrev_b32_e32 v75, 16, v54
	;; [unrolled: 1-line block ×3, first 2 shown]
.LBB7_2:
	s_or_b32 exec_lo, exec_lo, s1
	v_lshlrev_b32_e32 v61, 16, v61
	s_waitcnt vmcnt(0)
	v_lshlrev_b32_e32 v71, 16, v65
	v_lshlrev_b32_e32 v82, 16, v72
	v_and_b32_e32 v72, 0xffff0000, v65
	v_lshlrev_b32_e32 v65, 16, v66
	v_lshlrev_b32_e32 v84, 16, v70
	v_mul_f32_e32 v61, v71, v61
	v_and_b32_e32 v70, 0xffff0000, v66
	v_mul_f32_e32 v82, v72, v82
	v_lshlrev_b32_e32 v62, 16, v62
	v_lshlrev_b32_e32 v87, 16, v63
	v_bfe_u32 v83, v61, 16, 1
	v_or_b32_e32 v66, 0x400000, v61
	v_bfe_u32 v85, v82, 16, 1
	v_cmp_u_f32_e64 s0, v61, v61
	v_or_b32_e32 v86, 0x400000, v82
	v_add3_u32 v83, v83, v61, 0x7fff
	v_lshlrev_b32_e32 v63, 16, v67
	v_add3_u32 v85, v85, v82, 0x7fff
	v_lshlrev_b32_e32 v57, 16, v57
	v_lshlrev_b32_e32 v79, 16, v79
	v_cndmask_b32_e64 v61, v83, v66, s0
	v_cmp_u_f32_e64 s0, v82, v82
	v_and_b32_e32 v66, 0xffff0000, v67
	v_mul_f32_e32 v57, v71, v57
	v_mul_f32_e32 v79, v72, v79
	v_and_b32_e32 v83, 0xffff0000, v61
	v_cndmask_b32_e64 v82, v85, v86, s0
	v_lshlrev_b32_e32 v61, 16, v68
	v_lshlrev_b32_e32 v81, 16, v81
	;; [unrolled: 1-line block ×3, first 2 shown]
	v_fmac_f32_e32 v83, v62, v65
	v_and_b32_e32 v67, 0xffff0000, v82
	v_and_b32_e32 v62, 0xffff0000, v68
	v_lshlrev_b32_e32 v64, 16, v64
	v_lshlrev_b32_e32 v80, 16, v80
	v_bfe_u32 v68, v83, 16, 1
	v_fmac_f32_e32 v67, v84, v70
	v_or_b32_e32 v84, 0x400000, v83
	v_cmp_u_f32_e64 s0, v83, v83
	v_lshlrev_b32_e32 v78, 16, v78
	v_add3_u32 v68, v68, v83, 0x7fff
	v_bfe_u32 v82, v67, 16, 1
	v_or_b32_e32 v85, 0x400000, v67
	v_or_b32_e32 v83, 0x400000, v57
	v_lshlrev_b32_e32 v59, 16, v59
	v_cndmask_b32_e64 v68, v68, v84, s0
	v_add3_u32 v82, v82, v67, 0x7fff
	v_cmp_u_f32_e64 s0, v67, v67
	v_bfe_u32 v84, v79, 16, 1
	v_lshlrev_b32_e32 v53, 16, v53
	v_and_b32_e32 v68, 0xffff0000, v68
	v_lshlrev_b32_e32 v60, 16, v60
	v_cndmask_b32_e64 v67, v82, v85, s0
	v_bfe_u32 v82, v57, 16, 1
	v_cmp_u_f32_e64 s0, v57, v57
	v_fmac_f32_e32 v68, v87, v63
	v_or_b32_e32 v85, 0x400000, v79
	v_and_b32_e32 v67, 0xffff0000, v67
	v_add3_u32 v82, v82, v57, 0x7fff
	v_mul_f32_e32 v53, v71, v53
	v_lshlrev_b32_e32 v54, 16, v54
	v_fmac_f32_e32 v67, v81, v66
	v_add3_u32 v81, v84, v79, 0x7fff
	v_cndmask_b32_e64 v57, v82, v83, s0
	v_bfe_u32 v82, v68, 16, 1
	v_cmp_u_f32_e64 s0, v79, v79
	v_bfe_u32 v83, v67, 16, 1
	v_or_b32_e32 v84, 0x400000, v67
	v_and_b32_e32 v57, 0xffff0000, v57
	v_add3_u32 v82, v82, v68, 0x7fff
	v_cndmask_b32_e64 v79, v81, v85, s0
	v_or_b32_e32 v81, 0x400000, v68
	v_cmp_u_f32_e64 s0, v68, v68
	v_add3_u32 v83, v83, v67, 0x7fff
	v_fmac_f32_e32 v57, v58, v65
	v_and_b32_e32 v58, 0xffff0000, v79
	v_cndmask_b32_e64 v68, v82, v81, s0
	v_cmp_u_f32_e64 s0, v67, v67
	v_bfe_u32 v79, v57, 16, 1
	v_fmac_f32_e32 v58, v78, v70
	v_and_b32_e32 v68, 0xffff0000, v68
	v_cndmask_b32_e64 v67, v83, v84, s0
	v_add3_u32 v78, v79, v57, 0x7fff
	v_cmp_u_f32_e64 s0, v57, v57
	v_bfe_u32 v79, v58, 16, 1
	v_fmac_f32_e32 v68, v64, v61
	v_and_b32_e32 v67, 0xffff0000, v67
	v_or_b32_e32 v64, 0x400000, v57
	v_add3_u32 v79, v79, v58, 0x7fff
	v_fmac_f32_e32 v67, v80, v62
	v_bfe_u32 v80, v68, 16, 1
	v_cndmask_b32_e64 v57, v78, v64, s0
	v_cmp_u_f32_e64 s0, v58, v58
	v_or_b32_e32 v64, 0x400000, v68
	v_bfe_u32 v81, v67, 16, 1
	v_add3_u32 v78, v80, v68, 0x7fff
	v_and_b32_e32 v57, 0xffff0000, v57
	v_or_b32_e32 v82, 0x400000, v67
	v_add3_u32 v80, v81, v67, 0x7fff
	v_or_b32_e32 v81, 0x400000, v58
	v_fmac_f32_e32 v57, v59, v63
	v_cndmask_b32_e64 v58, v79, v81, s0
	v_cmp_u_f32_e64 s0, v68, v68
	v_bfe_u32 v68, v57, 16, 1
	v_or_b32_e32 v79, 0x400000, v53
	v_and_b32_e32 v58, 0xffff0000, v58
	v_cndmask_b32_e64 v64, v78, v64, s0
	v_cmp_u_f32_e64 s0, v67, v67
	v_lshlrev_b32_e32 v67, 16, v77
	v_add3_u32 v68, v68, v57, 0x7fff
	v_and_b32_e32 v64, 0xffff0000, v64
	v_cndmask_b32_e64 v59, v80, v82, s0
	v_fmac_f32_e32 v58, v67, v66
	v_lshlrev_b32_e32 v67, 16, v76
	v_or_b32_e32 v76, 0x400000, v57
	v_cmp_u_f32_e64 s0, v57, v57
	v_and_b32_e32 v59, 0xffff0000, v59
	v_bfe_u32 v77, v58, 16, 1
	v_mul_f32_e32 v67, v72, v67
	v_or_b32_e32 v78, 0x400000, v58
	v_cndmask_b32_e64 v57, v68, v76, s0
	v_bfe_u32 v68, v53, 16, 1
	v_add3_u32 v76, v77, v58, 0x7fff
	v_bfe_u32 v77, v67, 16, 1
	v_cmp_u_f32_e64 s0, v53, v53
	v_and_b32_e32 v57, 0xffff0000, v57
	v_add3_u32 v68, v68, v53, 0x7fff
	v_or_b32_e32 v80, 0x400000, v67
	v_add3_u32 v77, v77, v67, 0x7fff
	v_add_f32_e32 v59, v64, v59
	v_fmac_f32_e32 v57, v60, v61
	v_cndmask_b32_e64 v53, v68, v79, s0
	v_cmp_u_f32_e64 s0, v67, v67
	v_bfe_u32 v68, v57, 16, 1
	v_and_b32_e32 v53, 0xffff0000, v53
	v_cndmask_b32_e64 v67, v77, v80, s0
	v_cmp_u_f32_e64 s0, v58, v58
	v_fmac_f32_e32 v53, v54, v65
	v_and_b32_e32 v60, 0xffff0000, v67
	v_cndmask_b32_e64 v58, v76, v78, s0
	v_lshlrev_b32_e32 v67, 16, v75
	v_lshlrev_b32_e32 v54, 16, v74
	v_bfe_u32 v74, v53, 16, 1
	v_cmp_u_f32_e64 s0, v57, v57
	v_and_b32_e32 v58, 0xffff0000, v58
	v_fmac_f32_e32 v60, v67, v70
	v_add3_u32 v67, v68, v57, 0x7fff
	v_or_b32_e32 v68, 0x400000, v57
	v_fmac_f32_e32 v58, v54, v62
	v_bfe_u32 v54, v60, 16, 1
	v_or_b32_e32 v75, 0x400000, v60
	v_cndmask_b32_e64 v57, v67, v68, s0
	v_add3_u32 v67, v74, v53, 0x7fff
	v_or_b32_e32 v68, 0x400000, v53
	v_cmp_u_f32_e64 s0, v53, v53
	v_bfe_u32 v74, v58, 16, 1
	v_add3_u32 v54, v54, v60, 0x7fff
	v_and_b32_e32 v57, 0xffff0000, v57
	v_cndmask_b32_e64 v53, v67, v68, s0
	v_cmp_u_f32_e64 s0, v60, v60
	v_add3_u32 v67, v74, v58, 0x7fff
	v_or_b32_e32 v68, 0x400000, v58
	v_and_b32_e32 v60, 0xffff0000, v53
	v_cndmask_b32_e64 v54, v54, v75, s0
	v_lshlrev_b32_e32 v53, 16, v55
	v_cmp_u_f32_e64 s0, v58, v58
	v_lshlrev_b32_e32 v58, 16, v73
	v_and_b32_e32 v54, 0xffff0000, v54
	v_fmac_f32_e32 v60, v53, v63
	v_cndmask_b32_e64 v55, v67, v68, s0
	v_cndmask_b32_e32 v53, 0, v59, vcc_lo
	v_and_b32_e32 v59, 0xffff0000, v49
	v_fmac_f32_e32 v54, v58, v66
	v_bfe_u32 v58, v60, 16, 1
	v_and_b32_e32 v55, 0xffff0000, v55
	v_lshlrev_b32_e32 v49, 16, v49
	v_or_b32_e32 v64, 0x400000, v60
	v_mul_f32_e32 v59, v72, v59
	v_add3_u32 v58, v58, v60, 0x7fff
	v_add_f32_e32 v55, v57, v55
	v_bfe_u32 v57, v54, 16, 1
	v_cmp_u_f32_e64 s0, v60, v60
	v_or_b32_e32 v67, 0x400000, v54
	v_mul_f32_e32 v49, v71, v49
	v_bfe_u32 v60, v59, 16, 1
	v_add3_u32 v57, v57, v54, 0x7fff
	v_cndmask_b32_e64 v58, v58, v64, s0
	v_cmp_u_f32_e64 s0, v54, v54
	v_lshlrev_b32_e32 v64, 16, v56
	v_add3_u32 v60, v60, v59, 0x7fff
	v_or_b32_e32 v68, 0x400000, v49
	v_and_b32_e32 v58, 0xffff0000, v58
	v_cndmask_b32_e64 v54, v57, v67, s0
	v_bfe_u32 v57, v49, 16, 1
	v_or_b32_e32 v67, 0x400000, v59
	v_cmp_u_f32_e64 s0, v59, v59
	v_fmac_f32_e32 v58, v64, v61
	v_and_b32_e32 v54, 0xffff0000, v54
	v_add3_u32 v57, v57, v49, 0x7fff
	v_and_b32_e32 v56, 0xffff0000, v56
	v_cndmask_b32_e64 v59, v60, v67, s0
	v_cmp_u_f32_e64 s0, v49, v49
	v_bfe_u32 v64, v58, 16, 1
	v_fmac_f32_e32 v54, v56, v62
	v_cndmask_b32_e64 v49, v57, v68, s0
	v_and_b32_e32 v57, 0xffff0000, v59
	v_and_b32_e32 v59, 0xffff0000, v50
	v_lshlrev_b32_e32 v50, 16, v50
	v_bfe_u32 v56, v54, 16, 1
	v_and_b32_e32 v60, 0xffff0000, v49
	v_cndmask_b32_e32 v49, 0, v55, vcc_lo
	v_fmac_f32_e32 v57, v59, v70
	v_or_b32_e32 v55, 0x400000, v58
	v_cmp_u_f32_e64 s0, v58, v58
	v_fmac_f32_e32 v60, v50, v65
	v_add3_u32 v50, v64, v58, 0x7fff
	v_bfe_u32 v59, v57, 16, 1
	v_or_b32_e32 v58, 0x400000, v57
	v_or_b32_e32 v67, 0x400000, v54
	v_bfe_u32 v64, v60, 16, 1
	v_cndmask_b32_e64 v50, v50, v55, s0
	v_add3_u32 v55, v56, v54, 0x7fff
	v_add3_u32 v56, v59, v57, 0x7fff
	v_cmp_u_f32_e64 s0, v57, v57
	v_add3_u32 v59, v64, v60, 0x7fff
	v_or_b32_e32 v64, 0x400000, v60
	v_and_b32_e32 v50, 0xffff0000, v50
	v_cndmask_b32_e64 v56, v56, v58, s0
	v_cmp_u_f32_e64 s0, v60, v60
	v_and_b32_e32 v58, 0xffff0000, v45
	v_lshlrev_b32_e32 v45, 16, v45
	v_cndmask_b32_e64 v57, v59, v64, s0
	v_cmp_u_f32_e64 s0, v54, v54
	v_mul_f32_e32 v45, v71, v45
	v_and_b32_e32 v57, 0xffff0000, v57
	v_cndmask_b32_e64 v54, v55, v67, s0
	v_and_b32_e32 v55, 0xffff0000, v56
	v_and_b32_e32 v56, 0xffff0000, v51
	v_bfe_u32 v59, v45, 16, 1
	v_lshlrev_b32_e32 v51, 16, v51
	v_or_b32_e32 v67, 0x400000, v45
	v_and_b32_e32 v54, 0xffff0000, v54
	v_fmac_f32_e32 v55, v56, v66
	v_mul_f32_e32 v56, v72, v58
	v_add3_u32 v59, v59, v45, 0x7fff
	v_fmac_f32_e32 v57, v51, v63
	v_add_f32_e32 v50, v50, v54
	v_bfe_u32 v51, v55, 16, 1
	v_bfe_u32 v58, v56, 16, 1
	v_or_b32_e32 v64, 0x400000, v56
	v_cmp_u_f32_e64 s0, v56, v56
	v_or_b32_e32 v68, 0x400000, v55
	v_add3_u32 v51, v51, v55, 0x7fff
	v_add3_u32 v58, v58, v56, 0x7fff
	v_bfe_u32 v60, v57, 16, 1
	v_cndmask_b32_e64 v56, v58, v64, s0
	v_cmp_u_f32_e64 s0, v45, v45
	v_add3_u32 v58, v60, v57, 0x7fff
	v_and_b32_e32 v60, 0xffff0000, v52
	v_lshlrev_b32_e32 v52, 16, v52
	v_cndmask_b32_e64 v45, v59, v67, s0
	v_cmp_u_f32_e64 s0, v55, v55
	v_and_b32_e32 v55, 0xffff0000, v56
	v_lshlrev_b32_e32 v56, 16, v46
	v_and_b32_e32 v46, 0xffff0000, v46
	v_and_b32_e32 v45, 0xffff0000, v45
	v_cndmask_b32_e64 v51, v51, v68, s0
	v_or_b32_e32 v59, 0x400000, v57
	v_cmp_u_f32_e64 s0, v57, v57
	v_fmac_f32_e32 v55, v46, v70
	v_fmac_f32_e32 v45, v56, v65
	v_and_b32_e32 v51, 0xffff0000, v51
	v_cndmask_b32_e64 v46, v58, v59, s0
	v_bfe_u32 v56, v55, 16, 1
	v_bfe_u32 v54, v45, 16, 1
	v_or_b32_e32 v57, 0x400000, v45
	v_cmp_u_f32_e64 s0, v45, v45
	v_fmac_f32_e32 v51, v60, v62
	v_and_b32_e32 v46, 0xffff0000, v46
	v_add3_u32 v54, v54, v45, 0x7fff
	v_add3_u32 v56, v56, v55, 0x7fff
	v_or_b32_e32 v58, 0x400000, v55
	v_fmac_f32_e32 v46, v52, v61
	v_cndmask_b32_e64 v45, v54, v57, s0
	v_cmp_u_f32_e64 s0, v55, v55
	v_bfe_u32 v54, v51, 16, 1
	v_or_b32_e32 v57, 0x400000, v51
	v_bfe_u32 v55, v46, 16, 1
	v_and_b32_e32 v45, 0xffff0000, v45
	v_cndmask_b32_e64 v52, v56, v58, s0
	v_lshlrev_b32_e32 v56, 16, v47
	v_and_b32_e32 v47, 0xffff0000, v47
	v_add3_u32 v54, v54, v51, 0x7fff
	v_cmp_u_f32_e64 s0, v51, v51
	v_and_b32_e32 v52, 0xffff0000, v52
	v_add3_u32 v55, v55, v46, 0x7fff
	v_fmac_f32_e32 v45, v56, v63
	v_cndmask_b32_e64 v51, v54, v57, s0
	v_fmac_f32_e32 v52, v47, v66
	v_or_b32_e32 v47, 0x400000, v46
	v_cmp_u_f32_e64 s0, v46, v46
	v_bfe_u32 v54, v45, 16, 1
	v_or_b32_e32 v57, 0x400000, v45
	v_bfe_u32 v56, v52, 16, 1
	v_cndmask_b32_e64 v46, v55, v47, s0
	v_lshlrev_b32_e32 v47, 16, v41
	v_and_b32_e32 v41, 0xffff0000, v41
	v_add3_u32 v55, v56, v52, 0x7fff
	v_or_b32_e32 v56, 0x400000, v52
	v_cmp_u_f32_e64 s0, v52, v52
	v_mul_f32_e32 v47, v71, v47
	v_add3_u32 v54, v54, v45, 0x7fff
	v_mul_f32_e32 v41, v72, v41
	v_and_b32_e32 v46, 0xffff0000, v46
	v_cndmask_b32_e64 v52, v55, v56, s0
	v_bfe_u32 v55, v47, 16, 1
	v_cmp_u_f32_e64 s0, v45, v45
	v_or_b32_e32 v58, 0x400000, v41
	v_and_b32_e32 v56, 0xffff0000, v48
	v_lshlrev_b32_e32 v48, 16, v48
	v_add3_u32 v55, v55, v47, 0x7fff
	v_cndmask_b32_e64 v45, v54, v57, s0
	v_bfe_u32 v54, v41, 16, 1
	v_or_b32_e32 v57, 0x400000, v47
	v_cmp_u_f32_e64 s0, v47, v47
	v_and_b32_e32 v52, 0xffff0000, v52
	v_and_b32_e32 v45, 0xffff0000, v45
	v_add3_u32 v54, v54, v41, 0x7fff
	v_cndmask_b32_e64 v47, v55, v57, s0
	v_cmp_u_f32_e64 s0, v41, v41
	v_fmac_f32_e32 v45, v48, v61
	v_fmac_f32_e32 v52, v56, v62
	v_and_b32_e32 v47, 0xffff0000, v47
	v_cndmask_b32_e64 v41, v54, v58, s0
	v_lshlrev_b32_e32 v54, 16, v42
	v_and_b32_e32 v42, 0xffff0000, v42
	v_bfe_u32 v48, v52, 16, 1
	v_or_b32_e32 v59, 0x400000, v45
	v_and_b32_e32 v41, 0xffff0000, v41
	v_fmac_f32_e32 v47, v54, v65
	v_or_b32_e32 v56, 0x400000, v52
	v_add3_u32 v48, v48, v52, 0x7fff
	v_fmac_f32_e32 v41, v42, v70
	v_bfe_u32 v54, v47, 16, 1
	v_or_b32_e32 v57, 0x400000, v47
	v_cmp_u_f32_e64 s0, v47, v47
	v_and_b32_e32 v42, 0xffff0000, v51
	v_bfe_u32 v55, v41, 16, 1
	v_add3_u32 v54, v54, v47, 0x7fff
	v_bfe_u32 v51, v45, 16, 1
	v_or_b32_e32 v58, 0x400000, v41
	v_add_f32_e32 v42, v46, v42
	v_add3_u32 v55, v55, v41, 0x7fff
	v_cndmask_b32_e64 v47, v54, v57, s0
	v_cmp_u_f32_e64 s0, v41, v41
	v_add3_u32 v51, v51, v45, 0x7fff
	v_cndmask_b32_e32 v42, 0, v42, vcc_lo
	v_and_b32_e32 v47, 0xffff0000, v47
	v_cndmask_b32_e64 v41, v55, v58, s0
	v_cmp_u_f32_e64 s0, v45, v45
	v_and_b32_e32 v54, 0xffff0000, v41
	v_cndmask_b32_e64 v45, v51, v59, s0
	v_cmp_u_f32_e64 s0, v52, v52
	v_lshlrev_b32_e32 v51, 16, v43
	v_and_b32_e32 v41, 0xffff0000, v43
	v_and_b32_e32 v45, 0xffff0000, v45
	v_cndmask_b32_e64 v43, v48, v56, s0
	v_fmac_f32_e32 v47, v51, v63
	v_fmac_f32_e32 v54, v41, v66
	v_cndmask_b32_e32 v41, 0, v50, vcc_lo
	v_and_b32_e32 v43, 0xffff0000, v43
	v_bfe_u32 v46, v47, 16, 1
	v_bfe_u32 v48, v54, 16, 1
	v_or_b32_e32 v50, 0x400000, v54
	v_cmp_u_f32_e64 s0, v54, v54
	v_add_f32_e32 v43, v45, v43
	v_and_b32_e32 v45, 0xffff0000, v37
	v_lshlrev_b32_e32 v37, 16, v37
	v_add3_u32 v48, v48, v54, 0x7fff
	v_add3_u32 v46, v46, v47, 0x7fff
	v_or_b32_e32 v51, 0x400000, v47
	v_mul_f32_e32 v45, v72, v45
	v_mul_f32_e32 v37, v71, v37
	v_cndmask_b32_e64 v48, v48, v50, s0
	v_cmp_u_f32_e64 s0, v47, v47
	v_bfe_u32 v50, v45, 16, 1
	v_bfe_u32 v47, v37, 16, 1
	v_or_b32_e32 v52, 0x400000, v45
	v_cndmask_b32_e64 v46, v46, v51, s0
	v_cmp_u_f32_e64 s0, v45, v45
	v_add3_u32 v50, v50, v45, 0x7fff
	v_and_b32_e32 v48, 0xffff0000, v48
	v_and_b32_e32 v51, 0xffff0000, v44
	v_add3_u32 v47, v47, v37, 0x7fff
	v_or_b32_e32 v54, 0x400000, v37
	v_cndmask_b32_e64 v45, v50, v52, s0
	v_cmp_u_f32_e64 s0, v37, v37
	v_fmac_f32_e32 v48, v51, v62
	v_and_b32_e32 v46, 0xffff0000, v46
	v_lshlrev_b32_e32 v44, 16, v44
	v_and_b32_e32 v45, 0xffff0000, v45
	v_cndmask_b32_e64 v37, v47, v54, s0
	v_and_b32_e32 v47, 0xffff0000, v38
	v_lshlrev_b32_e32 v38, 16, v38
	v_bfe_u32 v51, v48, 16, 1
	v_fmac_f32_e32 v46, v44, v61
	v_and_b32_e32 v50, 0xffff0000, v37
	v_fmac_f32_e32 v45, v47, v70
	v_cndmask_b32_e32 v37, 0, v43, vcc_lo
	v_or_b32_e32 v43, 0x400000, v48
	v_bfe_u32 v44, v46, 16, 1
	v_fmac_f32_e32 v50, v38, v65
	v_add3_u32 v38, v51, v48, 0x7fff
	v_bfe_u32 v47, v45, 16, 1
	v_cmp_u_f32_e64 s0, v48, v48
	v_or_b32_e32 v52, 0x400000, v46
	v_bfe_u32 v51, v50, 16, 1
	v_cndmask_b32_e64 v38, v38, v43, s0
	v_add3_u32 v43, v44, v46, 0x7fff
	v_add3_u32 v44, v47, v45, 0x7fff
	v_or_b32_e32 v47, 0x400000, v45
	v_cmp_u_f32_e64 s0, v45, v45
	v_add3_u32 v48, v51, v50, 0x7fff
	v_or_b32_e32 v51, 0x400000, v50
	v_and_b32_e32 v38, 0xffff0000, v38
	v_cndmask_b32_e64 v44, v44, v47, s0
	v_cmp_u_f32_e64 s0, v50, v50
	v_and_b32_e32 v47, 0xffff0000, v33
	v_lshlrev_b32_e32 v33, 16, v33
	v_and_b32_e32 v44, 0xffff0000, v44
	v_cndmask_b32_e64 v45, v48, v51, s0
	v_cmp_u_f32_e64 s0, v46, v46
	v_and_b32_e32 v46, 0xffff0000, v39
	v_mul_f32_e32 v33, v71, v33
	v_lshlrev_b32_e32 v39, 16, v39
	v_and_b32_e32 v45, 0xffff0000, v45
	v_cndmask_b32_e64 v43, v43, v52, s0
	v_fmac_f32_e32 v44, v46, v66
	v_mul_f32_e32 v46, v72, v47
	v_bfe_u32 v48, v33, 16, 1
	v_or_b32_e32 v52, 0x400000, v33
	v_fmac_f32_e32 v45, v39, v63
	v_bfe_u32 v39, v44, 16, 1
	v_bfe_u32 v47, v46, 16, 1
	v_or_b32_e32 v51, 0x400000, v46
	v_cmp_u_f32_e64 s0, v46, v46
	v_add3_u32 v48, v48, v33, 0x7fff
	v_add3_u32 v39, v39, v44, 0x7fff
	;; [unrolled: 1-line block ×3, first 2 shown]
	v_or_b32_e32 v54, 0x400000, v44
	v_and_b32_e32 v43, 0xffff0000, v43
	v_bfe_u32 v50, v45, 16, 1
	v_cndmask_b32_e64 v46, v47, v51, s0
	v_cmp_u_f32_e64 s0, v33, v33
	v_add_f32_e32 v38, v43, v38
	v_add3_u32 v47, v50, v45, 0x7fff
	v_and_b32_e32 v50, 0xffff0000, v40
	v_lshlrev_b32_e32 v40, 16, v40
	v_cndmask_b32_e64 v33, v48, v52, s0
	v_cmp_u_f32_e64 s0, v44, v44
	v_and_b32_e32 v44, 0xffff0000, v46
	v_lshlrev_b32_e32 v46, 16, v34
	v_and_b32_e32 v34, 0xffff0000, v34
	v_and_b32_e32 v33, 0xffff0000, v33
	v_cndmask_b32_e64 v39, v39, v54, s0
	v_or_b32_e32 v48, 0x400000, v45
	v_cmp_u_f32_e64 s0, v45, v45
	v_fmac_f32_e32 v44, v34, v70
	v_fmac_f32_e32 v33, v46, v65
	v_and_b32_e32 v39, 0xffff0000, v39
	v_cndmask_b32_e64 v34, v47, v48, s0
	v_bfe_u32 v45, v44, 16, 1
	v_bfe_u32 v43, v33, 16, 1
	v_or_b32_e32 v46, 0x400000, v33
	v_cmp_u_f32_e64 s0, v33, v33
	v_fmac_f32_e32 v39, v50, v62
	v_and_b32_e32 v34, 0xffff0000, v34
	v_add3_u32 v43, v43, v33, 0x7fff
	v_add3_u32 v45, v45, v44, 0x7fff
	v_or_b32_e32 v47, 0x400000, v44
	v_fmac_f32_e32 v34, v40, v61
	v_cndmask_b32_e64 v33, v43, v46, s0
	v_cmp_u_f32_e64 s0, v44, v44
	v_bfe_u32 v43, v39, 16, 1
	v_or_b32_e32 v46, 0x400000, v39
	v_bfe_u32 v44, v34, 16, 1
	v_and_b32_e32 v33, 0xffff0000, v33
	v_cndmask_b32_e64 v40, v45, v47, s0
	v_lshlrev_b32_e32 v45, 16, v35
	v_and_b32_e32 v35, 0xffff0000, v35
	v_add3_u32 v43, v43, v39, 0x7fff
	v_cmp_u_f32_e64 s0, v39, v39
	v_and_b32_e32 v40, 0xffff0000, v40
	v_add3_u32 v44, v44, v34, 0x7fff
	v_fmac_f32_e32 v33, v45, v63
	v_cndmask_b32_e64 v39, v43, v46, s0
	v_fmac_f32_e32 v40, v35, v66
	v_or_b32_e32 v35, 0x400000, v34
	v_cmp_u_f32_e64 s0, v34, v34
	v_bfe_u32 v43, v33, 16, 1
	v_or_b32_e32 v46, 0x400000, v33
	v_bfe_u32 v45, v40, 16, 1
	v_cndmask_b32_e64 v34, v44, v35, s0
	v_lshlrev_b32_e32 v35, 16, v29
	v_and_b32_e32 v29, 0xffff0000, v29
	v_add3_u32 v44, v45, v40, 0x7fff
	v_or_b32_e32 v45, 0x400000, v40
	v_cmp_u_f32_e64 s0, v40, v40
	v_mul_f32_e32 v35, v71, v35
	v_add3_u32 v43, v43, v33, 0x7fff
	v_mul_f32_e32 v29, v72, v29
	v_and_b32_e32 v34, 0xffff0000, v34
	v_cndmask_b32_e64 v40, v44, v45, s0
	v_bfe_u32 v44, v35, 16, 1
	v_cmp_u_f32_e64 s0, v33, v33
	v_or_b32_e32 v47, 0x400000, v29
	v_and_b32_e32 v45, 0xffff0000, v36
	v_lshlrev_b32_e32 v36, 16, v36
	v_add3_u32 v44, v44, v35, 0x7fff
	v_cndmask_b32_e64 v33, v43, v46, s0
	v_bfe_u32 v43, v29, 16, 1
	v_or_b32_e32 v46, 0x400000, v35
	v_cmp_u_f32_e64 s0, v35, v35
	v_and_b32_e32 v40, 0xffff0000, v40
	v_and_b32_e32 v33, 0xffff0000, v33
	v_add3_u32 v43, v43, v29, 0x7fff
	v_cndmask_b32_e64 v35, v44, v46, s0
	v_cmp_u_f32_e64 s0, v29, v29
	v_fmac_f32_e32 v33, v36, v61
	v_fmac_f32_e32 v40, v45, v62
	v_and_b32_e32 v35, 0xffff0000, v35
	v_cndmask_b32_e64 v29, v43, v47, s0
	v_lshlrev_b32_e32 v43, 16, v30
	v_and_b32_e32 v30, 0xffff0000, v30
	v_bfe_u32 v36, v40, 16, 1
	v_or_b32_e32 v48, 0x400000, v33
	v_and_b32_e32 v29, 0xffff0000, v29
	v_fmac_f32_e32 v35, v43, v65
	v_or_b32_e32 v45, 0x400000, v40
	v_add3_u32 v36, v36, v40, 0x7fff
	v_fmac_f32_e32 v29, v30, v70
	v_bfe_u32 v43, v35, 16, 1
	v_or_b32_e32 v46, 0x400000, v35
	v_cmp_u_f32_e64 s0, v35, v35
	v_and_b32_e32 v30, 0xffff0000, v39
	v_bfe_u32 v44, v29, 16, 1
	v_add3_u32 v43, v43, v35, 0x7fff
	v_bfe_u32 v39, v33, 16, 1
	v_or_b32_e32 v47, 0x400000, v29
	v_add_f32_e32 v30, v34, v30
	v_add3_u32 v44, v44, v29, 0x7fff
	v_cndmask_b32_e64 v35, v43, v46, s0
	v_cmp_u_f32_e64 s0, v29, v29
	v_add3_u32 v39, v39, v33, 0x7fff
	v_cndmask_b32_e32 v30, 0, v30, vcc_lo
	v_and_b32_e32 v35, 0xffff0000, v35
	v_cndmask_b32_e64 v29, v44, v47, s0
	v_cmp_u_f32_e64 s0, v33, v33
	v_and_b32_e32 v43, 0xffff0000, v29
	v_cndmask_b32_e64 v33, v39, v48, s0
	v_cmp_u_f32_e64 s0, v40, v40
	v_lshlrev_b32_e32 v39, 16, v31
	v_and_b32_e32 v29, 0xffff0000, v31
	v_and_b32_e32 v40, 0xffff0000, v32
	v_and_b32_e32 v33, 0xffff0000, v33
	v_cndmask_b32_e64 v31, v36, v45, s0
	v_fmac_f32_e32 v35, v39, v63
	v_fmac_f32_e32 v43, v29, v66
	v_cndmask_b32_e32 v29, 0, v38, vcc_lo
	v_lshlrev_b32_e32 v32, 16, v32
	v_and_b32_e32 v31, 0xffff0000, v31
	v_bfe_u32 v34, v35, 16, 1
	v_bfe_u32 v36, v43, 16, 1
	v_or_b32_e32 v38, 0x400000, v43
	v_cmp_u_f32_e64 s0, v43, v43
	v_add_f32_e32 v31, v33, v31
	v_lshlrev_b32_e32 v33, 16, v25
	v_and_b32_e32 v25, 0xffff0000, v25
	v_add3_u32 v36, v36, v43, 0x7fff
	v_add3_u32 v34, v34, v35, 0x7fff
	v_or_b32_e32 v39, 0x400000, v35
	v_mul_f32_e32 v33, v71, v33
	v_mul_f32_e32 v25, v72, v25
	v_cndmask_b32_e64 v36, v36, v38, s0
	v_cmp_u_f32_e64 s0, v35, v35
	v_bfe_u32 v38, v33, 16, 1
	v_bfe_u32 v35, v25, 16, 1
	v_or_b32_e32 v43, 0x400000, v25
	v_cndmask_b32_e64 v34, v34, v39, s0
	v_or_b32_e32 v39, 0x400000, v33
	v_add3_u32 v38, v38, v33, 0x7fff
	v_cmp_u_f32_e64 s0, v33, v33
	v_add3_u32 v35, v35, v25, 0x7fff
	v_and_b32_e32 v34, 0xffff0000, v34
	v_and_b32_e32 v36, 0xffff0000, v36
	v_cndmask_b32_e64 v33, v38, v39, s0
	v_cmp_u_f32_e64 s0, v25, v25
	v_fmac_f32_e32 v34, v32, v61
	v_fmac_f32_e32 v36, v40, v62
	v_and_b32_e32 v33, 0xffff0000, v33
	v_cndmask_b32_e64 v25, v35, v43, s0
	v_lshlrev_b32_e32 v35, 16, v26
	v_and_b32_e32 v26, 0xffff0000, v26
	v_or_b32_e32 v43, 0x400000, v34
	v_bfe_u32 v32, v36, 16, 1
	v_and_b32_e32 v38, 0xffff0000, v25
	v_fmac_f32_e32 v33, v35, v65
	v_cndmask_b32_e32 v25, 0, v31, vcc_lo
	v_or_b32_e32 v35, 0x400000, v36
	v_add3_u32 v32, v32, v36, 0x7fff
	v_fmac_f32_e32 v38, v26, v70
	v_bfe_u32 v31, v33, 16, 1
	v_bfe_u32 v26, v34, 16, 1
	v_or_b32_e32 v40, 0x400000, v33
	v_cmp_u_f32_e64 s0, v33, v33
	v_bfe_u32 v39, v38, 16, 1
	v_add3_u32 v31, v31, v33, 0x7fff
	v_add3_u32 v26, v26, v34, 0x7fff
	v_or_b32_e32 v44, 0x400000, v38
	v_add3_u32 v39, v39, v38, 0x7fff
	v_cndmask_b32_e64 v31, v31, v40, s0
	v_cmp_u_f32_e64 s0, v34, v34
	v_lshlrev_b32_e32 v34, 16, v27
	v_and_b32_e32 v27, 0xffff0000, v27
	v_and_b32_e32 v31, 0xffff0000, v31
	v_cndmask_b32_e64 v26, v26, v43, s0
	v_cmp_u_f32_e64 s0, v38, v38
	v_fmac_f32_e32 v31, v34, v63
	v_and_b32_e32 v26, 0xffff0000, v26
	v_cndmask_b32_e64 v33, v39, v44, s0
	v_cmp_u_f32_e64 s0, v36, v36
	v_or_b32_e32 v36, 0x400000, v31
	v_and_b32_e32 v33, 0xffff0000, v33
	v_cndmask_b32_e64 v32, v32, v35, s0
	v_lshlrev_b32_e32 v35, 16, v21
	v_and_b32_e32 v21, 0xffff0000, v21
	v_fmac_f32_e32 v33, v27, v66
	v_and_b32_e32 v32, 0xffff0000, v32
	v_mul_f32_e32 v34, v71, v35
	v_bfe_u32 v35, v31, 16, 1
	v_mul_f32_e32 v21, v72, v21
	v_or_b32_e32 v40, 0x400000, v33
	v_add_f32_e32 v26, v26, v32
	v_bfe_u32 v27, v34, 16, 1
	v_add3_u32 v32, v35, v31, 0x7fff
	v_bfe_u32 v35, v33, 16, 1
	v_or_b32_e32 v38, 0x400000, v34
	v_cmp_u_f32_e64 s0, v34, v34
	v_add3_u32 v27, v27, v34, 0x7fff
	v_bfe_u32 v39, v21, 16, 1
	v_add3_u32 v35, v35, v33, 0x7fff
	v_cndmask_b32_e64 v27, v27, v38, s0
	v_cmp_u_f32_e64 s0, v33, v33
	v_add3_u32 v34, v39, v21, 0x7fff
	v_or_b32_e32 v38, 0x400000, v21
	v_and_b32_e32 v27, 0xffff0000, v27
	v_cndmask_b32_e64 v33, v35, v40, s0
	v_cmp_u_f32_e64 s0, v21, v21
	v_lshlrev_b32_e32 v35, 16, v22
	v_and_b32_e32 v22, 0xffff0000, v22
	v_cndmask_b32_e64 v21, v34, v38, s0
	v_cmp_u_f32_e64 s0, v31, v31
	v_fmac_f32_e32 v27, v35, v65
	v_and_b32_e32 v34, 0xffff0000, v21
	v_cndmask_b32_e64 v31, v32, v36, s0
	v_and_b32_e32 v32, 0xffff0000, v33
	v_and_b32_e32 v33, 0xffff0000, v28
	v_cndmask_b32_e32 v21, 0, v26, vcc_lo
	v_bfe_u32 v26, v27, 16, 1
	v_fmac_f32_e32 v34, v22, v70
	v_and_b32_e32 v31, 0xffff0000, v31
	v_fmac_f32_e32 v32, v33, v62
	v_lshlrev_b32_e32 v22, 16, v28
	v_add3_u32 v26, v26, v27, 0x7fff
	v_or_b32_e32 v28, 0x400000, v27
	v_bfe_u32 v35, v34, 16, 1
	v_cmp_u_f32_e64 s0, v27, v27
	v_bfe_u32 v33, v32, 16, 1
	v_fmac_f32_e32 v31, v22, v61
	v_add3_u32 v27, v35, v34, 0x7fff
	v_cndmask_b32_e64 v22, v26, v28, s0
	v_or_b32_e32 v28, 0x400000, v34
	v_cmp_u_f32_e64 s0, v34, v34
	v_add3_u32 v26, v33, v32, 0x7fff
	v_bfe_u32 v33, v31, 16, 1
	v_lshlrev_b32_e32 v35, 16, v23
	v_or_b32_e32 v34, 0x400000, v31
	v_cndmask_b32_e64 v27, v27, v28, s0
	v_and_b32_e32 v23, 0xffff0000, v23
	v_add3_u32 v33, v33, v31, 0x7fff
	v_cmp_u_f32_e64 s0, v31, v31
	v_or_b32_e32 v28, 0x400000, v32
	v_and_b32_e32 v27, 0xffff0000, v27
	v_and_b32_e32 v22, 0xffff0000, v22
	v_cndmask_b32_e64 v31, v33, v34, s0
	v_and_b32_e32 v33, 0xffff0000, v17
	v_fmac_f32_e32 v27, v23, v66
	v_cmp_u_f32_e64 s0, v32, v32
	v_fmac_f32_e32 v22, v35, v63
	v_lshlrev_b32_e32 v17, 16, v17
	v_or_b32_e32 v35, 0x400000, v27
	v_cndmask_b32_e64 v23, v26, v28, s0
	v_mul_f32_e32 v26, v72, v33
	v_and_b32_e32 v28, 0xffff0000, v31
	v_bfe_u32 v31, v27, 16, 1
	v_cmp_u_f32_e64 s0, v27, v27
	v_bfe_u32 v34, v22, 16, 1
	v_bfe_u32 v33, v26, 16, 1
	v_mul_f32_e32 v17, v71, v17
	v_add3_u32 v31, v31, v27, 0x7fff
	v_or_b32_e32 v36, 0x400000, v26
	v_add3_u32 v32, v34, v22, 0x7fff
	v_add3_u32 v33, v33, v26, 0x7fff
	v_or_b32_e32 v34, 0x400000, v22
	v_cndmask_b32_e64 v27, v31, v35, s0
	v_cmp_u_f32_e64 s0, v26, v26
	v_bfe_u32 v31, v17, 16, 1
	v_and_b32_e32 v23, 0xffff0000, v23
	v_and_b32_e32 v27, 0xffff0000, v27
	v_cndmask_b32_e64 v26, v33, v36, s0
	v_cmp_u_f32_e64 s0, v22, v22
	v_add3_u32 v31, v31, v17, 0x7fff
	v_and_b32_e32 v33, 0xffff0000, v18
	v_lshlrev_b32_e32 v18, 16, v18
	v_and_b32_e32 v26, 0xffff0000, v26
	v_cndmask_b32_e64 v22, v32, v34, s0
	v_or_b32_e32 v32, 0x400000, v17
	v_cmp_u_f32_e64 s0, v17, v17
	v_and_b32_e32 v34, 0xffff0000, v19
	v_fmac_f32_e32 v26, v33, v70
	v_and_b32_e32 v22, 0xffff0000, v22
	v_add_f32_e32 v23, v28, v23
	v_cndmask_b32_e64 v17, v31, v32, s0
	v_and_b32_e32 v31, 0xffff0000, v24
	v_lshlrev_b32_e32 v24, 16, v24
	v_cmp_u_f32_e64 s0, v26, v26
	v_and_b32_e32 v17, 0xffff0000, v17
	v_fmac_f32_e32 v27, v31, v62
	v_bfe_u32 v31, v26, 16, 1
	v_fmac_f32_e32 v22, v24, v61
	v_fmac_f32_e32 v17, v18, v65
	v_bfe_u32 v18, v27, 16, 1
	v_add3_u32 v24, v31, v26, 0x7fff
	v_or_b32_e32 v31, 0x400000, v26
	v_bfe_u32 v32, v22, 16, 1
	v_bfe_u32 v33, v17, 16, 1
	v_add3_u32 v18, v18, v27, 0x7fff
	v_cndmask_b32_e64 v24, v24, v31, s0
	v_add3_u32 v26, v32, v22, 0x7fff
	v_add3_u32 v31, v33, v17, 0x7fff
	v_or_b32_e32 v32, 0x400000, v17
	v_cmp_u_f32_e64 s0, v17, v17
	v_or_b32_e32 v33, 0x400000, v22
	v_and_b32_e32 v24, 0xffff0000, v24
	v_cndmask_b32_e64 v17, v31, v32, s0
	v_cmp_u_f32_e64 s0, v22, v22
	v_or_b32_e32 v31, 0x400000, v27
	v_fmac_f32_e32 v24, v34, v66
	v_cndmask_b32_e64 v22, v26, v33, s0
	v_cmp_u_f32_e64 s0, v27, v27
	v_and_b32_e32 v26, 0xffff0000, v17
	v_lshlrev_b32_e32 v17, 16, v19
	v_bfe_u32 v19, v24, 16, 1
	v_and_b32_e32 v22, 0xffff0000, v22
	v_cndmask_b32_e64 v18, v18, v31, s0
	v_or_b32_e32 v27, 0x400000, v24
	v_fmac_f32_e32 v26, v17, v63
	v_add3_u32 v19, v19, v24, 0x7fff
	v_cndmask_b32_e32 v17, 0, v23, vcc_lo
	v_and_b32_e32 v18, 0xffff0000, v18
	v_cmp_u_f32_e64 s0, v24, v24
	v_bfe_u32 v23, v26, 16, 1
	v_or_b32_e32 v24, 0x400000, v26
	v_add_f32_e32 v18, v22, v18
	v_lshlrev_b32_e32 v22, 16, v13
	v_cndmask_b32_e64 v19, v19, v27, s0
	v_add3_u32 v23, v23, v26, 0x7fff
	v_and_b32_e32 v13, 0xffff0000, v13
	v_cmp_u_f32_e64 s0, v26, v26
	v_mul_f32_e32 v22, v71, v22
	v_and_b32_e32 v19, 0xffff0000, v19
	v_and_b32_e32 v27, 0xffff0000, v20
	v_mul_f32_e32 v28, v72, v13
	v_cndmask_b32_e64 v23, v23, v24, s0
	v_bfe_u32 v24, v22, 16, 1
	v_cndmask_b32_e32 v13, 0, v18, vcc_lo
	v_or_b32_e32 v26, 0x400000, v22
	v_bfe_u32 v18, v28, 16, 1
	v_and_b32_e32 v23, 0xffff0000, v23
	v_add3_u32 v24, v24, v22, 0x7fff
	v_lshlrev_b32_e32 v20, 16, v20
	v_cmp_u_f32_e64 s0, v22, v22
	v_fmac_f32_e32 v19, v27, v62
	v_add3_u32 v18, v18, v28, 0x7fff
	v_or_b32_e32 v27, 0x400000, v28
	v_fmac_f32_e32 v23, v20, v61
	v_cndmask_b32_e64 v22, v24, v26, s0
	v_cmp_u_f32_e64 s0, v28, v28
	v_lshlrev_b32_e32 v24, 16, v14
	v_bfe_u32 v20, v19, 16, 1
	v_bfe_u32 v26, v23, 16, 1
	v_and_b32_e32 v22, 0xffff0000, v22
	v_cndmask_b32_e64 v18, v18, v27, s0
	v_and_b32_e32 v14, 0xffff0000, v14
	v_cmp_u_f32_e64 s0, v23, v23
	v_add3_u32 v20, v20, v19, 0x7fff
	v_fmac_f32_e32 v22, v24, v65
	v_and_b32_e32 v18, 0xffff0000, v18
	v_add3_u32 v24, v26, v23, 0x7fff
	v_or_b32_e32 v26, 0x400000, v23
	v_bfe_u32 v27, v22, 16, 1
	v_fmac_f32_e32 v18, v14, v70
	v_or_b32_e32 v14, 0x400000, v19
	v_cndmask_b32_e64 v23, v24, v26, s0
	v_cmp_u_f32_e64 s0, v19, v19
	v_add3_u32 v19, v27, v22, 0x7fff
	v_bfe_u32 v24, v18, 16, 1
	v_or_b32_e32 v26, 0x400000, v18
	v_and_b32_e32 v23, 0xffff0000, v23
	v_cndmask_b32_e64 v14, v20, v14, s0
	v_or_b32_e32 v20, 0x400000, v22
	v_cmp_u_f32_e64 s0, v22, v22
	v_add3_u32 v24, v24, v18, 0x7fff
	v_lshlrev_b32_e32 v22, 16, v15
	v_and_b32_e32 v14, 0xffff0000, v14
	v_and_b32_e32 v15, 0xffff0000, v15
	v_cndmask_b32_e64 v19, v19, v20, s0
	v_cmp_u_f32_e64 s0, v18, v18
	v_and_b32_e32 v20, 0xffff0000, v9
	v_add_f32_e32 v14, v23, v14
	v_and_b32_e32 v27, 0xffff0000, v10
	v_and_b32_e32 v19, 0xffff0000, v19
	v_cndmask_b32_e64 v18, v24, v26, s0
	v_mul_f32_e32 v20, v72, v20
	v_lshlrev_b32_e32 v10, 16, v10
	v_fmac_f32_e32 v19, v22, v63
	v_and_b32_e32 v18, 0xffff0000, v18
	v_lshlrev_b32_e32 v22, 16, v9
	v_bfe_u32 v23, v20, 16, 1
	v_cmp_u_f32_e64 s0, v20, v20
	v_cndmask_b32_e32 v9, 0, v14, vcc_lo
	v_fmac_f32_e32 v18, v15, v66
	v_mul_f32_e32 v15, v71, v22
	v_add3_u32 v22, v23, v20, 0x7fff
	v_or_b32_e32 v23, 0x400000, v20
	v_bfe_u32 v14, v19, 16, 1
	v_bfe_u32 v24, v18, 16, 1
	;; [unrolled: 1-line block ×3, first 2 shown]
	v_cndmask_b32_e64 v20, v22, v23, s0
	v_or_b32_e32 v23, 0x400000, v18
	v_add3_u32 v22, v24, v18, 0x7fff
	v_cmp_u_f32_e64 s0, v18, v18
	v_add3_u32 v24, v26, v15, 0x7fff
	v_or_b32_e32 v26, 0x400000, v15
	v_and_b32_e32 v20, 0xffff0000, v20
	v_add3_u32 v14, v14, v19, 0x7fff
	v_cndmask_b32_e64 v18, v22, v23, s0
	v_cmp_u_f32_e64 s0, v15, v15
	v_or_b32_e32 v22, 0x400000, v19
	v_fmac_f32_e32 v20, v27, v70
	v_and_b32_e32 v23, 0xffff0000, v16
	v_and_b32_e32 v18, 0xffff0000, v18
	v_cndmask_b32_e64 v15, v24, v26, s0
	v_cmp_u_f32_e64 s0, v19, v19
	v_bfe_u32 v24, v20, 16, 1
	v_or_b32_e32 v19, 0x400000, v20
	v_lshlrev_b32_e32 v16, 16, v16
	v_and_b32_e32 v15, 0xffff0000, v15
	v_cndmask_b32_e64 v14, v14, v22, s0
	v_cmp_u_f32_e64 s0, v20, v20
	v_fmac_f32_e32 v18, v23, v62
	v_fmac_f32_e32 v15, v10, v65
	v_add3_u32 v10, v24, v20, 0x7fff
	v_and_b32_e32 v14, 0xffff0000, v14
	v_lshlrev_b32_e32 v24, 16, v7
	v_and_b32_e32 v7, 0xffff0000, v7
	v_bfe_u32 v22, v15, 16, 1
	v_cndmask_b32_e64 v10, v10, v19, s0
	v_fmac_f32_e32 v14, v16, v61
	v_bfe_u32 v19, v18, 16, 1
	v_or_b32_e32 v20, 0x400000, v15
	v_add3_u32 v16, v22, v15, 0x7fff
	v_and_b32_e32 v22, 0xffff0000, v10
	v_and_b32_e32 v10, 0xffff0000, v11
	v_bfe_u32 v23, v14, 16, 1
	v_cmp_u_f32_e64 s0, v15, v15
	v_lshlrev_b32_e32 v11, 16, v11
	v_fmac_f32_e32 v22, v10, v66
	v_add3_u32 v10, v23, v14, 0x7fff
	v_cndmask_b32_e64 v15, v16, v20, s0
	v_add3_u32 v16, v19, v18, 0x7fff
	v_or_b32_e32 v19, 0x400000, v14
	v_cmp_u_f32_e64 s0, v14, v14
	v_bfe_u32 v20, v22, 16, 1
	v_and_b32_e32 v15, 0xffff0000, v15
	v_or_b32_e32 v23, 0x400000, v18
	v_or_b32_e32 v14, 0x400000, v22
	v_cndmask_b32_e64 v10, v10, v19, s0
	v_cmp_u_f32_e64 s0, v18, v18
	v_fmac_f32_e32 v15, v11, v63
	v_add3_u32 v11, v20, v22, 0x7fff
	v_and_b32_e32 v20, 0xffff0000, v12
	v_lshlrev_b32_e32 v12, 16, v12
	v_cndmask_b32_e64 v16, v16, v23, s0
	v_cmp_u_f32_e64 s0, v22, v22
	v_bfe_u32 v18, v15, 16, 1
	v_or_b32_e32 v19, 0x400000, v15
	v_and_b32_e32 v10, 0xffff0000, v10
	v_and_b32_e32 v16, 0xffff0000, v16
	v_cndmask_b32_e64 v11, v11, v14, s0
	v_and_b32_e32 v14, 0xffff0000, v5
	v_add3_u32 v18, v18, v15, 0x7fff
	v_lshlrev_b32_e32 v5, 16, v5
	v_cmp_u_f32_e64 s0, v15, v15
	v_and_b32_e32 v11, 0xffff0000, v11
	v_mul_f32_e32 v14, v72, v14
	v_add_f32_e32 v10, v10, v16
	v_mul_f32_e32 v5, v71, v5
	v_cndmask_b32_e64 v15, v18, v19, s0
	v_fmac_f32_e32 v11, v20, v62
	v_bfe_u32 v18, v14, 16, 1
	v_or_b32_e32 v20, 0x400000, v14
	v_bfe_u32 v19, v5, 16, 1
	v_cmp_u_f32_e64 s0, v14, v14
	v_or_b32_e32 v22, 0x400000, v5
	v_add3_u32 v18, v18, v14, 0x7fff
	v_and_b32_e32 v15, 0xffff0000, v15
	v_add3_u32 v19, v19, v5, 0x7fff
	v_cndmask_b32_e64 v14, v18, v20, s0
	v_cmp_u_f32_e64 s0, v5, v5
	v_bfe_u32 v18, v11, 16, 1
	v_fmac_f32_e32 v15, v12, v61
	v_and_b32_e32 v12, 0xffff0000, v14
	v_cndmask_b32_e64 v5, v19, v22, s0
	v_and_b32_e32 v14, 0xffff0000, v6
	v_lshlrev_b32_e32 v6, 16, v6
	v_add3_u32 v18, v18, v11, 0x7fff
	v_or_b32_e32 v19, 0x400000, v11
	v_and_b32_e32 v5, 0xffff0000, v5
	v_bfe_u32 v20, v15, 16, 1
	v_cmp_u_f32_e64 s0, v11, v11
	v_fmac_f32_e32 v12, v14, v70
	v_fmac_f32_e32 v5, v6, v65
	v_add3_u32 v11, v20, v15, 0x7fff
	v_cndmask_b32_e64 v6, v18, v19, s0
	v_and_b32_e32 v20, 0xffff0000, v1
	v_bfe_u32 v14, v12, 16, 1
	v_bfe_u32 v18, v5, 16, 1
	v_lshlrev_b32_e32 v1, 16, v1
	v_or_b32_e32 v22, 0x400000, v5
	v_mul_f32_e32 v20, v72, v20
	v_cmp_u_f32_e64 s0, v5, v5
	v_add3_u32 v18, v18, v5, 0x7fff
	v_add3_u32 v14, v14, v12, 0x7fff
	v_mul_f32_e32 v1, v71, v1
	v_or_b32_e32 v23, 0x400000, v12
	v_or_b32_e32 v19, 0x400000, v15
	v_cndmask_b32_e64 v5, v18, v22, s0
	v_bfe_u32 v18, v20, 16, 1
	v_cmp_u_f32_e64 s0, v12, v12
	v_bfe_u32 v22, v1, 16, 1
	v_and_b32_e32 v5, 0xffff0000, v5
	v_cndmask_b32_e64 v12, v14, v23, s0
	v_add3_u32 v14, v18, v20, 0x7fff
	v_or_b32_e32 v18, 0x400000, v20
	v_cmp_u_f32_e64 s0, v20, v20
	v_add3_u32 v22, v22, v1, 0x7fff
	v_or_b32_e32 v23, 0x400000, v1
	v_and_b32_e32 v12, 0xffff0000, v12
	v_fmac_f32_e32 v5, v24, v63
	v_cndmask_b32_e64 v14, v14, v18, s0
	v_cmp_u_f32_e64 s0, v1, v1
	v_and_b32_e32 v18, 0xffff0000, v2
	v_lshlrev_b32_e32 v2, 16, v2
	v_fmac_f32_e32 v12, v7, v66
	v_and_b32_e32 v14, 0xffff0000, v14
	v_cndmask_b32_e64 v1, v22, v23, s0
	v_cmp_u_f32_e64 s0, v15, v15
	v_fmac_f32_e32 v14, v18, v70
	v_and_b32_e32 v1, 0xffff0000, v1
	v_cndmask_b32_e64 v7, v11, v19, s0
	v_or_b32_e32 v19, 0x400000, v12
	v_cmp_u_f32_e64 s0, v12, v12
	v_bfe_u32 v11, v14, 16, 1
	v_fmac_f32_e32 v1, v2, v65
	v_bfe_u32 v2, v12, 16, 1
	v_or_b32_e32 v22, 0x400000, v14
	v_bfe_u32 v18, v5, 16, 1
	v_add3_u32 v11, v11, v14, 0x7fff
	v_bfe_u32 v15, v1, 16, 1
	v_add3_u32 v2, v2, v12, 0x7fff
	v_or_b32_e32 v20, 0x400000, v1
	v_and_b32_e32 v12, 0xffff0000, v8
	v_lshlrev_b32_e32 v8, 16, v8
	v_add3_u32 v15, v15, v1, 0x7fff
	v_cndmask_b32_e64 v2, v2, v19, s0
	v_cmp_u_f32_e64 s0, v1, v1
	v_and_b32_e32 v7, 0xffff0000, v7
	v_and_b32_e32 v2, 0xffff0000, v2
	v_cndmask_b32_e64 v1, v15, v20, s0
	v_cmp_u_f32_e64 s0, v14, v14
	v_lshlrev_b32_e32 v14, 16, v3
	v_and_b32_e32 v3, 0xffff0000, v3
	v_add3_u32 v15, v18, v5, 0x7fff
	v_and_b32_e32 v1, 0xffff0000, v1
	v_cndmask_b32_e64 v11, v11, v22, s0
	v_or_b32_e32 v18, 0x400000, v5
	v_cmp_u_f32_e64 s0, v5, v5
	v_and_b32_e32 v5, 0xffff0000, v6
	v_fmac_f32_e32 v1, v14, v63
	v_and_b32_e32 v11, 0xffff0000, v11
	v_fmac_f32_e32 v2, v12, v62
	v_add_f32_e32 v5, v7, v5
	v_bfe_u32 v6, v1, 16, 1
	v_fmac_f32_e32 v11, v3, v66
	v_cndmask_b32_e64 v3, v15, v18, s0
	v_or_b32_e32 v15, 0x400000, v1
	v_cmp_u_f32_e64 s0, v1, v1
	v_add3_u32 v6, v6, v1, 0x7fff
	v_bfe_u32 v14, v11, 16, 1
	v_and_b32_e32 v3, 0xffff0000, v3
	v_bfe_u32 v12, v2, 16, 1
	v_or_b32_e32 v18, 0x400000, v11
	v_cndmask_b32_e64 v1, v6, v15, s0
	v_add3_u32 v14, v14, v11, 0x7fff
	v_fmac_f32_e32 v3, v8, v61
	v_cmp_u_f32_e64 s0, v11, v11
	v_add3_u32 v8, v12, v2, 0x7fff
	v_and_b32_e32 v1, 0xffff0000, v1
	v_lshlrev_b32_e32 v12, 16, v4
	v_bfe_u32 v11, v3, 16, 1
	v_cndmask_b32_e64 v6, v14, v18, s0
	v_and_b32_e32 v4, 0xffff0000, v4
	v_or_b32_e32 v14, 0x400000, v3
	v_fmac_f32_e32 v1, v12, v61
	v_add3_u32 v11, v11, v3, 0x7fff
	v_and_b32_e32 v6, 0xffff0000, v6
	v_cmp_u_f32_e64 s0, v3, v3
	v_or_b32_e32 v12, 0x400000, v2
	v_cndmask_b32_e32 v5, 0, v5, vcc_lo
	v_fmac_f32_e32 v6, v4, v62
	v_cndmask_b32_e64 v3, v11, v14, s0
	v_bfe_u32 v4, v1, 16, 1
	v_cmp_u_f32_e64 s0, v2, v2
	v_mbcnt_lo_u32_b32 v11, -1, 0
	v_or_b32_e32 v14, 0x400000, v6
	v_and_b32_e32 v3, 0xffff0000, v3
	v_add3_u32 v4, v4, v1, 0x7fff
	v_cndmask_b32_e64 v2, v8, v12, s0
	v_bfe_u32 v8, v6, 16, 1
	v_or_b32_e32 v12, 0x400000, v1
	v_cmp_u_f32_e64 s0, v1, v1
	v_xor_b32_e32 v15, 16, v11
	v_and_b32_e32 v2, 0xffff0000, v2
	v_add3_u32 v8, v8, v6, 0x7fff
	v_cndmask_b32_e64 v1, v4, v12, s0
	v_cmp_u_f32_e64 s0, v6, v6
	v_add_f32_e32 v2, v3, v2
	v_cndmask_b32_e64 v4, v8, v14, s0
	v_cmp_gt_i32_e64 s0, 32, v15
	v_and_b32_e32 v8, 0xffff0000, v1
	v_cndmask_b32_e32 v7, 0, v2, vcc_lo
	v_xor_b32_e32 v2, 8, v11
	v_and_b32_e32 v4, 0xffff0000, v4
	v_cndmask_b32_e64 v6, v11, v15, s0
	s_mov_b32 s0, exec_lo
	v_add_f32_e32 v3, v8, v4
	v_lshlrev_b32_e32 v1, 2, v6
	v_cndmask_b32_e32 v4, 0, v10, vcc_lo
	v_cndmask_b32_e32 v3, 0, v3, vcc_lo
	ds_bpermute_b32 v6, v1, v53
	ds_bpermute_b32 v8, v1, v49
	;; [unrolled: 1-line block ×8, first 2 shown]
	v_cmp_gt_i32_e32 vcc_lo, 32, v2
	ds_bpermute_b32 v28, v1, v3
	ds_bpermute_b32 v15, v1, v29
	;; [unrolled: 1-line block ×4, first 2 shown]
	v_cndmask_b32_e32 v2, v11, v2, vcc_lo
	ds_bpermute_b32 v18, v1, v25
	ds_bpermute_b32 v24, v1, v4
	;; [unrolled: 1-line block ×4, first 2 shown]
	v_lshlrev_b32_e32 v2, 2, v2
	s_waitcnt lgkmcnt(15)
	v_add_f32_e32 v6, v53, v6
	s_waitcnt lgkmcnt(14)
	v_add_f32_e32 v8, v49, v8
	;; [unrolled: 2-line block ×5, first 2 shown]
	ds_bpermute_b32 v31, v2, v6
	ds_bpermute_b32 v32, v2, v8
	s_waitcnt lgkmcnt(12)
	v_add_f32_e32 v17, v17, v20
	s_waitcnt lgkmcnt(11)
	v_add_f32_e32 v13, v13, v22
	;; [unrolled: 2-line block ×3, first 2 shown]
	ds_bpermute_b32 v20, v2, v10
	ds_bpermute_b32 v22, v2, v14
	s_waitcnt lgkmcnt(11)
	v_add_f32_e32 v23, v3, v28
	v_xor_b32_e32 v3, 4, v11
	s_waitcnt lgkmcnt(10)
	v_add_f32_e32 v15, v29, v15
	s_waitcnt lgkmcnt(9)
	v_add_f32_e32 v16, v30, v16
	;; [unrolled: 2-line block ×3, first 2 shown]
	ds_bpermute_b32 v21, v2, v12
	v_cmp_gt_i32_e32 vcc_lo, 32, v3
	s_waitcnt lgkmcnt(8)
	v_add_f32_e32 v18, v25, v18
	s_waitcnt lgkmcnt(7)
	v_add_f32_e32 v4, v4, v24
	ds_bpermute_b32 v24, v2, v15
	ds_bpermute_b32 v25, v2, v16
	v_cndmask_b32_e32 v3, v11, v3, vcc_lo
	s_waitcnt lgkmcnt(8)
	v_add_f32_e32 v7, v7, v27
	ds_bpermute_b32 v27, v2, v19
	s_waitcnt lgkmcnt(7)
	v_add_f32_e32 v6, v6, v31
	s_waitcnt lgkmcnt(6)
	v_add_f32_e32 v8, v8, v32
	ds_bpermute_b32 v28, v2, v17
	ds_bpermute_b32 v31, v2, v4
	v_lshlrev_b32_e32 v3, 2, v3
	v_add_f32_e32 v5, v5, v26
	s_waitcnt lgkmcnt(7)
	v_add_f32_e32 v10, v10, v20
	s_waitcnt lgkmcnt(6)
	v_add_f32_e32 v14, v14, v22
	ds_bpermute_b32 v20, v2, v23
	ds_bpermute_b32 v22, v3, v8
	;; [unrolled: 1-line block ×7, first 2 shown]
	s_waitcnt lgkmcnt(12)
	v_add_f32_e32 v12, v12, v21
	s_waitcnt lgkmcnt(11)
	v_add_f32_e32 v15, v15, v24
	;; [unrolled: 2-line block ×3, first 2 shown]
	ds_bpermute_b32 v21, v3, v6
	ds_bpermute_b32 v24, v3, v10
	ds_bpermute_b32 v25, v3, v12
	s_waitcnt lgkmcnt(12)
	v_add_f32_e32 v19, v19, v27
	s_waitcnt lgkmcnt(11)
	v_add_f32_e32 v17, v17, v28
	;; [unrolled: 2-line block ×3, first 2 shown]
	ds_bpermute_b32 v4, v3, v15
	ds_bpermute_b32 v28, v3, v16
	s_waitcnt lgkmcnt(11)
	v_add_f32_e32 v20, v23, v20
	ds_bpermute_b32 v23, v3, v17
	s_waitcnt lgkmcnt(11)
	v_add_f32_e32 v8, v8, v22
	v_xor_b32_e32 v22, 2, v11
	s_waitcnt lgkmcnt(10)
	v_add_f32_e32 v18, v18, v26
	s_waitcnt lgkmcnt(9)
	v_add_f32_e32 v13, v13, v29
	;; [unrolled: 2-line block ×5, first 2 shown]
	v_cmp_gt_i32_e32 vcc_lo, 32, v22
	ds_bpermute_b32 v26, v3, v14
	ds_bpermute_b32 v29, v3, v18
	;; [unrolled: 1-line block ×6, first 2 shown]
	s_waitcnt lgkmcnt(11)
	v_add_f32_e32 v6, v6, v21
	s_waitcnt lgkmcnt(10)
	v_add_f32_e32 v10, v10, v24
	ds_bpermute_b32 v21, v3, v5
	s_waitcnt lgkmcnt(10)
	v_add_f32_e32 v12, v12, v25
	ds_bpermute_b32 v24, v3, v7
	ds_bpermute_b32 v25, v3, v20
	v_cndmask_b32_e32 v22, v11, v22, vcc_lo
	s_waitcnt lgkmcnt(11)
	v_add_f32_e32 v15, v15, v4
	s_waitcnt lgkmcnt(9)
	v_add_f32_e32 v23, v17, v23
	v_add_f32_e32 v16, v16, v28
	v_lshlrev_b32_e32 v4, 2, v22
	s_waitcnt lgkmcnt(8)
	v_add_f32_e32 v14, v14, v26
	s_waitcnt lgkmcnt(7)
	v_add_f32_e32 v18, v18, v29
	ds_bpermute_b32 v17, v4, v6
	s_waitcnt lgkmcnt(7)
	v_add_f32_e32 v26, v19, v30
	s_waitcnt lgkmcnt(6)
	v_add_f32_e32 v13, v13, v31
	;; [unrolled: 2-line block ×4, first 2 shown]
	ds_bpermute_b32 v19, v4, v8
	s_waitcnt lgkmcnt(4)
	v_add_f32_e32 v5, v5, v21
	ds_bpermute_b32 v22, v4, v10
	s_waitcnt lgkmcnt(4)
	v_add_f32_e32 v7, v7, v24
	s_waitcnt lgkmcnt(3)
	v_add_f32_e32 v20, v20, v25
	ds_bpermute_b32 v28, v4, v12
	ds_bpermute_b32 v29, v4, v14
	;; [unrolled: 1-line block ×13, first 2 shown]
	s_waitcnt lgkmcnt(15)
	v_add_f32_e32 v31, v6, v17
	v_xor_b32_e32 v6, 1, v11
	s_waitcnt lgkmcnt(14)
	v_add_f32_e32 v32, v8, v19
	s_waitcnt lgkmcnt(13)
	v_add_f32_e32 v33, v10, v22
	v_cmp_gt_i32_e32 vcc_lo, 32, v6
	s_waitcnt lgkmcnt(12)
	v_add_f32_e32 v21, v12, v28
	s_waitcnt lgkmcnt(11)
	v_add_f32_e32 v22, v14, v29
	;; [unrolled: 2-line block ×4, first 2 shown]
	v_cndmask_b32_e32 v6, v11, v6, vcc_lo
	s_waitcnt lgkmcnt(8)
	v_add_f32_e32 v15, v18, v35
	s_waitcnt lgkmcnt(7)
	v_add_f32_e32 v16, v26, v24
	;; [unrolled: 2-line block ×5, first 2 shown]
	v_lshlrev_b32_e32 v6, 2, v6
	s_waitcnt lgkmcnt(3)
	v_add_f32_e32 v11, v27, v38
	s_waitcnt lgkmcnt(2)
	v_add_f32_e32 v10, v5, v39
	;; [unrolled: 2-line block ×4, first 2 shown]
	ds_bpermute_b32 v37, v6, v31
	ds_bpermute_b32 v38, v6, v32
	;; [unrolled: 1-line block ×16, first 2 shown]
	v_and_b32_e32 v7, 31, v0
	v_lshrrev_b32_e32 v5, 5, v0
	v_cmpx_gt_u32_e32 16, v7
	s_cbranch_execz .LBB7_4
; %bb.3:
	s_waitcnt lgkmcnt(15)
	v_add_f32_e32 v31, v31, v37
	s_waitcnt lgkmcnt(14)
	v_add_f32_e32 v32, v32, v38
	v_cmp_eq_u32_e32 vcc_lo, 1, v7
	s_waitcnt lgkmcnt(13)
	v_add_f32_e32 v33, v33, v39
	s_waitcnt lgkmcnt(12)
	v_add_f32_e32 v21, v21, v36
	s_waitcnt lgkmcnt(11)
	v_add_f32_e32 v22, v22, v35
	s_waitcnt lgkmcnt(10)
	v_add_f32_e32 v19, v19, v34
	v_cndmask_b32_e32 v31, v31, v32, vcc_lo
	v_cmp_eq_u32_e32 vcc_lo, 2, v7
	s_waitcnt lgkmcnt(9)
	v_add_f32_e32 v17, v17, v30
	s_waitcnt lgkmcnt(8)
	v_add_f32_e32 v15, v15, v29
	s_waitcnt lgkmcnt(7)
	v_add_f32_e32 v16, v16, v28
	s_waitcnt lgkmcnt(6)
	v_add_f32_e32 v14, v14, v27
	v_cndmask_b32_e32 v31, v31, v33, vcc_lo
	;; [unrolled: 10-line block ×3, first 2 shown]
	v_cmp_eq_u32_e32 vcc_lo, 4, v7
	s_waitcnt lgkmcnt(1)
	v_add_f32_e32 v9, v9, v20
	s_waitcnt lgkmcnt(0)
	v_add_f32_e32 v8, v8, v18
	v_cndmask_b32_e32 v21, v21, v22, vcc_lo
	v_cmp_eq_u32_e32 vcc_lo, 5, v7
	v_cndmask_b32_e32 v19, v21, v19, vcc_lo
	v_cmp_eq_u32_e32 vcc_lo, 6, v7
	;; [unrolled: 2-line block ×10, first 2 shown]
	v_lshlrev_b32_e32 v11, 2, v5
	v_cndmask_b32_e32 v9, v10, v9, vcc_lo
	v_cmp_eq_u32_e32 vcc_lo, 15, v7
	v_lshl_or_b32 v10, v7, 7, v11
	v_cndmask_b32_e32 v8, v9, v8, vcc_lo
	ds_write_b32 v10, v8
.LBB7_4:
	s_or_b32 exec_lo, exec_lo, s0
	s_waitcnt lgkmcnt(0)
	s_barrier
	buffer_gl0_inv
	s_mov_b32 s0, exec_lo
	v_cmpx_gt_u32_e32 0x100, v0
	s_cbranch_execz .LBB7_9
; %bb.5:
	s_load_dword s0, s[4:5], 0x2c
	v_and_b32_e32 v8, 15, v0
	v_mov_b32_e32 v0, 0
	s_waitcnt lgkmcnt(0)
	s_and_b32 s0, 0xffff, s0
	s_lshr_b32 s0, s0, 5
	v_cmp_gt_u32_e32 vcc_lo, s0, v8
	s_and_saveexec_b32 s0, vcc_lo
; %bb.6:
	v_lshlrev_b32_e32 v0, 2, v8
	v_and_or_b32 v0, 0x1f80, v69, v0
	ds_read_b32 v0, v0
; %bb.7:
	s_or_b32 exec_lo, exec_lo, s0
	s_waitcnt lgkmcnt(0)
	ds_bpermute_b32 v2, v2, v0
	v_cmp_eq_u32_e32 vcc_lo, 0, v7
	s_waitcnt lgkmcnt(0)
	v_add_f32_e32 v0, v0, v2
	ds_bpermute_b32 v2, v3, v0
	s_waitcnt lgkmcnt(0)
	v_add_f32_e32 v0, v0, v2
	ds_bpermute_b32 v2, v4, v0
	;; [unrolled: 3-line block ×4, first 2 shown]
	s_and_b32 exec_lo, exec_lo, vcc_lo
	s_cbranch_execz .LBB7_9
; %bb.8:
	v_bfe_u32 v1, v2, 16, 1
	s_lshl_b32 s0, s6, 3
	s_waitcnt lgkmcnt(0)
	v_bfe_u32 v6, v0, 16, 1
	v_and_or_b32 v3, 0x7ffffff8, s0, v5
	v_or_b32_e32 v5, 0x400000, v2
	v_add3_u32 v1, v1, v2, 0x7fff
	v_cmp_u_f32_e32 vcc_lo, v2, v2
	v_mov_b32_e32 v4, 0
	v_add3_u32 v6, v6, v0, 0x7fff
	v_or_b32_e32 v7, 0x400000, v0
	v_cndmask_b32_e32 v2, v1, v5, vcc_lo
	v_cmp_u_f32_e32 vcc_lo, v0, v0
	v_lshlrev_b64 v[3:4], 2, v[3:4]
	v_cndmask_b32_e32 v5, v6, v7, vcc_lo
	v_add_co_u32 v0, vcc_lo, s2, v3
	v_add_co_ci_u32_e64 v1, null, s3, v4, vcc_lo
	v_perm_b32 v2, v5, v2, 0x7060302
	global_store_dword v[0:1], v2, off
.LBB7_9:
	s_endpgm
	.section	.rodata,"a",@progbits
	.p2align	6, 0x0
	.amdhsa_kernel _Z14LLGemm1_kernelIN3c108BFloat16ELi16EEvPKT_S4_PS2_i
		.amdhsa_group_segment_fixed_size 2048
		.amdhsa_private_segment_fixed_size 0
		.amdhsa_kernarg_size 288
		.amdhsa_user_sgpr_count 6
		.amdhsa_user_sgpr_private_segment_buffer 1
		.amdhsa_user_sgpr_dispatch_ptr 0
		.amdhsa_user_sgpr_queue_ptr 0
		.amdhsa_user_sgpr_kernarg_segment_ptr 1
		.amdhsa_user_sgpr_dispatch_id 0
		.amdhsa_user_sgpr_flat_scratch_init 0
		.amdhsa_user_sgpr_private_segment_size 0
		.amdhsa_wavefront_size32 1
		.amdhsa_uses_dynamic_stack 0
		.amdhsa_system_sgpr_private_segment_wavefront_offset 0
		.amdhsa_system_sgpr_workgroup_id_x 1
		.amdhsa_system_sgpr_workgroup_id_y 0
		.amdhsa_system_sgpr_workgroup_id_z 0
		.amdhsa_system_sgpr_workgroup_info 0
		.amdhsa_system_vgpr_workitem_id 0
		.amdhsa_next_free_vgpr 88
		.amdhsa_next_free_sgpr 16
		.amdhsa_reserve_vcc 1
		.amdhsa_reserve_flat_scratch 0
		.amdhsa_float_round_mode_32 0
		.amdhsa_float_round_mode_16_64 0
		.amdhsa_float_denorm_mode_32 3
		.amdhsa_float_denorm_mode_16_64 3
		.amdhsa_dx10_clamp 1
		.amdhsa_ieee_mode 1
		.amdhsa_fp16_overflow 0
		.amdhsa_workgroup_processor_mode 1
		.amdhsa_memory_ordered 1
		.amdhsa_forward_progress 1
		.amdhsa_shared_vgpr_count 0
		.amdhsa_exception_fp_ieee_invalid_op 0
		.amdhsa_exception_fp_denorm_src 0
		.amdhsa_exception_fp_ieee_div_zero 0
		.amdhsa_exception_fp_ieee_overflow 0
		.amdhsa_exception_fp_ieee_underflow 0
		.amdhsa_exception_fp_ieee_inexact 0
		.amdhsa_exception_int_div_zero 0
	.end_amdhsa_kernel
	.section	.text._Z14LLGemm1_kernelIN3c108BFloat16ELi16EEvPKT_S4_PS2_i,"axG",@progbits,_Z14LLGemm1_kernelIN3c108BFloat16ELi16EEvPKT_S4_PS2_i,comdat
.Lfunc_end7:
	.size	_Z14LLGemm1_kernelIN3c108BFloat16ELi16EEvPKT_S4_PS2_i, .Lfunc_end7-_Z14LLGemm1_kernelIN3c108BFloat16ELi16EEvPKT_S4_PS2_i
                                        ; -- End function
	.set _Z14LLGemm1_kernelIN3c108BFloat16ELi16EEvPKT_S4_PS2_i.num_vgpr, 88
	.set _Z14LLGemm1_kernelIN3c108BFloat16ELi16EEvPKT_S4_PS2_i.num_agpr, 0
	.set _Z14LLGemm1_kernelIN3c108BFloat16ELi16EEvPKT_S4_PS2_i.numbered_sgpr, 16
	.set _Z14LLGemm1_kernelIN3c108BFloat16ELi16EEvPKT_S4_PS2_i.num_named_barrier, 0
	.set _Z14LLGemm1_kernelIN3c108BFloat16ELi16EEvPKT_S4_PS2_i.private_seg_size, 0
	.set _Z14LLGemm1_kernelIN3c108BFloat16ELi16EEvPKT_S4_PS2_i.uses_vcc, 1
	.set _Z14LLGemm1_kernelIN3c108BFloat16ELi16EEvPKT_S4_PS2_i.uses_flat_scratch, 0
	.set _Z14LLGemm1_kernelIN3c108BFloat16ELi16EEvPKT_S4_PS2_i.has_dyn_sized_stack, 0
	.set _Z14LLGemm1_kernelIN3c108BFloat16ELi16EEvPKT_S4_PS2_i.has_recursion, 0
	.set _Z14LLGemm1_kernelIN3c108BFloat16ELi16EEvPKT_S4_PS2_i.has_indirect_call, 0
	.section	.AMDGPU.csdata,"",@progbits
; Kernel info:
; codeLenInByte = 10712
; TotalNumSgprs: 18
; NumVgprs: 88
; ScratchSize: 0
; MemoryBound: 0
; FloatMode: 240
; IeeeMode: 1
; LDSByteSize: 2048 bytes/workgroup (compile time only)
; SGPRBlocks: 0
; VGPRBlocks: 10
; NumSGPRsForWavesPerEU: 18
; NumVGPRsForWavesPerEU: 88
; Occupancy: 10
; WaveLimiterHint : 0
; COMPUTE_PGM_RSRC2:SCRATCH_EN: 0
; COMPUTE_PGM_RSRC2:USER_SGPR: 6
; COMPUTE_PGM_RSRC2:TRAP_HANDLER: 0
; COMPUTE_PGM_RSRC2:TGID_X_EN: 1
; COMPUTE_PGM_RSRC2:TGID_Y_EN: 0
; COMPUTE_PGM_RSRC2:TGID_Z_EN: 0
; COMPUTE_PGM_RSRC2:TIDIG_COMP_CNT: 0
	.text
	.p2align	2                               ; -- Begin function __ockl_fprintf_append_string_n
	.type	__ockl_fprintf_append_string_n,@function
__ockl_fprintf_append_string_n:         ; @__ockl_fprintf_append_string_n
; %bb.0:
	s_waitcnt vmcnt(0) expcnt(0) lgkmcnt(0)
	v_or_b32_e32 v2, 2, v0
	v_cmp_eq_u32_e32 vcc_lo, 0, v6
	v_mbcnt_lo_u32_b32 v35, -1, 0
	s_getpc_b64 s[4:5]
	s_add_u32 s4, s4, .str.3@rel32@lo+4
	s_addc_u32 s5, s5, .str.3@rel32@hi+12
	s_mov_b32 s14, 0
	s_cmp_lg_u64 s[4:5], 0
	v_cndmask_b32_e32 v34, v2, v0, vcc_lo
	s_cbranch_scc0 .LBB8_113
; %bb.1:
	s_load_dwordx2 s[6:7], s[8:9], 0x50
	v_and_b32_e32 v0, -3, v34
	s_getpc_b64 s[4:5]
	s_add_u32 s4, s4, .str.3@rel32@lo+4
	s_addc_u32 s5, s5, .str.3@rel32@hi+12
	v_mov_b32_e32 v11, v1
	v_mov_b32_e32 v2, s4
	v_and_b32_e32 v36, 2, v34
	v_mov_b32_e32 v7, 0
	v_mov_b32_e32 v3, s5
	;; [unrolled: 1-line block ×5, first 2 shown]
	s_mov_b32 s15, 0
	s_branch .LBB8_3
.LBB8_2:                                ;   in Loop: Header=BB8_3 Depth=1
	s_or_b32 exec_lo, exec_lo, s12
	v_sub_co_u32 v4, vcc_lo, v4, v30
	v_sub_co_ci_u32_e64 v5, null, v5, v31, vcc_lo
	v_add_co_u32 v2, s4, v2, v30
	v_add_co_ci_u32_e64 v3, null, v3, v31, s4
	v_cmp_eq_u64_e32 vcc_lo, 0, v[4:5]
	s_or_b32 s15, vcc_lo, s15
	s_andn2_b32 exec_lo, exec_lo, s15
	s_cbranch_execz .LBB8_85
.LBB8_3:                                ; =>This Loop Header: Depth=1
                                        ;     Child Loop BB8_6 Depth 2
                                        ;     Child Loop BB8_14 Depth 2
	;; [unrolled: 1-line block ×11, first 2 shown]
	v_cmp_gt_u64_e32 vcc_lo, 56, v[4:5]
	s_mov_b32 s5, exec_lo
	v_cndmask_b32_e32 v31, 0, v5, vcc_lo
	v_cndmask_b32_e32 v30, 56, v4, vcc_lo
	v_add_co_u32 v16, vcc_lo, v2, 8
	v_add_co_ci_u32_e64 v17, null, 0, v3, vcc_lo
	v_cmpx_gt_u64_e32 8, v[4:5]
	s_xor_b32 s5, exec_lo, s5
	s_cbranch_execz .LBB8_9
; %bb.4:                                ;   in Loop: Header=BB8_3 Depth=1
	s_waitcnt vmcnt(0)
	v_mov_b32_e32 v12, 0
	v_mov_b32_e32 v13, 0
	s_mov_b32 s12, exec_lo
	v_cmpx_ne_u64_e32 0, v[4:5]
	s_cbranch_execz .LBB8_8
; %bb.5:                                ;   in Loop: Header=BB8_3 Depth=1
	v_lshlrev_b64 v[14:15], 3, v[30:31]
	v_mov_b32_e32 v12, 0
	v_mov_b32_e32 v16, v3
	;; [unrolled: 1-line block ×4, first 2 shown]
	s_mov_b64 s[10:11], 0
	s_mov_b32 s13, 0
	.p2align	6
.LBB8_6:                                ;   Parent Loop BB8_3 Depth=1
                                        ; =>  This Inner Loop Header: Depth=2
	global_load_ubyte v0, v[15:16], off
	v_mov_b32_e32 v18, s14
	v_add_co_u32 v15, vcc_lo, v15, 1
	v_add_co_ci_u32_e64 v16, null, 0, v16, vcc_lo
	s_waitcnt vmcnt(0)
	v_and_b32_e32 v17, 0xffff, v0
	v_lshlrev_b64 v[17:18], s10, v[17:18]
	s_add_u32 s10, s10, 8
	s_addc_u32 s11, s11, 0
	v_cmp_eq_u32_e64 s4, s10, v14
	v_or_b32_e32 v13, v18, v13
	v_or_b32_e32 v12, v17, v12
	s_or_b32 s13, s4, s13
	s_andn2_b32 exec_lo, exec_lo, s13
	s_cbranch_execnz .LBB8_6
; %bb.7:                                ;   in Loop: Header=BB8_3 Depth=1
	s_or_b32 exec_lo, exec_lo, s13
.LBB8_8:                                ;   in Loop: Header=BB8_3 Depth=1
	s_or_b32 exec_lo, exec_lo, s12
	v_mov_b32_e32 v17, v3
	v_mov_b32_e32 v16, v2
.LBB8_9:                                ;   in Loop: Header=BB8_3 Depth=1
	s_or_saveexec_b32 s4, s5
	v_mov_b32_e32 v0, 0
	s_xor_b32 exec_lo, exec_lo, s4
	s_cbranch_execz .LBB8_11
; %bb.10:                               ;   in Loop: Header=BB8_3 Depth=1
	global_load_dwordx2 v[12:13], v[2:3], off
	v_add_nc_u32_e32 v0, -8, v30
.LBB8_11:                               ;   in Loop: Header=BB8_3 Depth=1
	s_or_b32 exec_lo, exec_lo, s4
	v_add_co_u32 v18, s4, v16, 8
	v_add_co_ci_u32_e64 v19, null, 0, v17, s4
                                        ; implicit-def: $vgpr14_vgpr15
	s_mov_b32 s4, exec_lo
	v_cmpx_gt_u32_e32 8, v0
	s_xor_b32 s12, exec_lo, s4
	s_cbranch_execz .LBB8_17
; %bb.12:                               ;   in Loop: Header=BB8_3 Depth=1
	v_mov_b32_e32 v14, 0
	v_mov_b32_e32 v15, 0
	s_mov_b32 s13, exec_lo
	v_cmpx_ne_u32_e32 0, v0
	s_cbranch_execz .LBB8_16
; %bb.13:                               ;   in Loop: Header=BB8_3 Depth=1
	v_mov_b32_e32 v14, 0
	v_mov_b32_e32 v15, 0
	s_mov_b64 s[4:5], 0
	s_mov_b32 s16, 0
	s_mov_b64 s[10:11], 0
	.p2align	6
.LBB8_14:                               ;   Parent Loop BB8_3 Depth=1
                                        ; =>  This Inner Loop Header: Depth=2
	v_add_co_u32 v18, vcc_lo, v16, s10
	v_add_co_ci_u32_e64 v19, null, s11, v17, vcc_lo
	s_add_u32 s10, s10, 1
	s_addc_u32 s11, s11, 0
	v_cmp_eq_u32_e32 vcc_lo, s10, v0
	global_load_ubyte v6, v[18:19], off
	v_mov_b32_e32 v19, s14
	s_waitcnt vmcnt(0)
	v_and_b32_e32 v18, 0xffff, v6
	v_lshlrev_b64 v[18:19], s4, v[18:19]
	s_add_u32 s4, s4, 8
	s_addc_u32 s5, s5, 0
	s_or_b32 s16, vcc_lo, s16
	v_or_b32_e32 v15, v19, v15
	v_or_b32_e32 v14, v18, v14
	s_andn2_b32 exec_lo, exec_lo, s16
	s_cbranch_execnz .LBB8_14
; %bb.15:                               ;   in Loop: Header=BB8_3 Depth=1
	s_or_b32 exec_lo, exec_lo, s16
.LBB8_16:                               ;   in Loop: Header=BB8_3 Depth=1
	s_or_b32 exec_lo, exec_lo, s13
	v_mov_b32_e32 v19, v17
	v_mov_b32_e32 v18, v16
                                        ; implicit-def: $vgpr0
.LBB8_17:                               ;   in Loop: Header=BB8_3 Depth=1
	s_or_saveexec_b32 s4, s12
	v_mov_b32_e32 v6, 0
	s_xor_b32 exec_lo, exec_lo, s4
	s_cbranch_execz .LBB8_19
; %bb.18:                               ;   in Loop: Header=BB8_3 Depth=1
	global_load_dwordx2 v[14:15], v[16:17], off
	v_add_nc_u32_e32 v6, -8, v0
.LBB8_19:                               ;   in Loop: Header=BB8_3 Depth=1
	s_or_b32 exec_lo, exec_lo, s4
	v_add_co_u32 v20, s4, v18, 8
	v_add_co_ci_u32_e64 v21, null, 0, v19, s4
	s_mov_b32 s4, exec_lo
	v_cmpx_gt_u32_e32 8, v6
	s_xor_b32 s12, exec_lo, s4
	s_cbranch_execz .LBB8_25
; %bb.20:                               ;   in Loop: Header=BB8_3 Depth=1
	v_mov_b32_e32 v16, 0
	v_mov_b32_e32 v17, 0
	s_mov_b32 s13, exec_lo
	v_cmpx_ne_u32_e32 0, v6
	s_cbranch_execz .LBB8_24
; %bb.21:                               ;   in Loop: Header=BB8_3 Depth=1
	v_mov_b32_e32 v16, 0
	v_mov_b32_e32 v17, 0
	s_mov_b64 s[4:5], 0
	s_mov_b32 s16, 0
	s_mov_b64 s[10:11], 0
	.p2align	6
.LBB8_22:                               ;   Parent Loop BB8_3 Depth=1
                                        ; =>  This Inner Loop Header: Depth=2
	v_add_co_u32 v20, vcc_lo, v18, s10
	v_add_co_ci_u32_e64 v21, null, s11, v19, vcc_lo
	s_add_u32 s10, s10, 1
	s_addc_u32 s11, s11, 0
	v_cmp_eq_u32_e32 vcc_lo, s10, v6
	global_load_ubyte v0, v[20:21], off
	v_mov_b32_e32 v21, s14
	s_waitcnt vmcnt(0)
	v_and_b32_e32 v20, 0xffff, v0
	v_lshlrev_b64 v[20:21], s4, v[20:21]
	s_add_u32 s4, s4, 8
	s_addc_u32 s5, s5, 0
	s_or_b32 s16, vcc_lo, s16
	v_or_b32_e32 v17, v21, v17
	v_or_b32_e32 v16, v20, v16
	s_andn2_b32 exec_lo, exec_lo, s16
	s_cbranch_execnz .LBB8_22
; %bb.23:                               ;   in Loop: Header=BB8_3 Depth=1
	s_or_b32 exec_lo, exec_lo, s16
.LBB8_24:                               ;   in Loop: Header=BB8_3 Depth=1
	s_or_b32 exec_lo, exec_lo, s13
	v_mov_b32_e32 v21, v19
	v_mov_b32_e32 v20, v18
                                        ; implicit-def: $vgpr6
.LBB8_25:                               ;   in Loop: Header=BB8_3 Depth=1
	s_or_saveexec_b32 s4, s12
	v_mov_b32_e32 v0, 0
	s_xor_b32 exec_lo, exec_lo, s4
	s_cbranch_execz .LBB8_27
; %bb.26:                               ;   in Loop: Header=BB8_3 Depth=1
	global_load_dwordx2 v[16:17], v[18:19], off
	v_add_nc_u32_e32 v0, -8, v6
.LBB8_27:                               ;   in Loop: Header=BB8_3 Depth=1
	s_or_b32 exec_lo, exec_lo, s4
	v_add_co_u32 v22, s4, v20, 8
	v_add_co_ci_u32_e64 v23, null, 0, v21, s4
                                        ; implicit-def: $vgpr18_vgpr19
	s_mov_b32 s4, exec_lo
	v_cmpx_gt_u32_e32 8, v0
	s_xor_b32 s12, exec_lo, s4
	s_cbranch_execz .LBB8_33
; %bb.28:                               ;   in Loop: Header=BB8_3 Depth=1
	v_mov_b32_e32 v18, 0
	v_mov_b32_e32 v19, 0
	s_mov_b32 s13, exec_lo
	v_cmpx_ne_u32_e32 0, v0
	s_cbranch_execz .LBB8_32
; %bb.29:                               ;   in Loop: Header=BB8_3 Depth=1
	v_mov_b32_e32 v18, 0
	v_mov_b32_e32 v19, 0
	s_mov_b64 s[4:5], 0
	s_mov_b32 s16, 0
	s_mov_b64 s[10:11], 0
	.p2align	6
.LBB8_30:                               ;   Parent Loop BB8_3 Depth=1
                                        ; =>  This Inner Loop Header: Depth=2
	v_add_co_u32 v22, vcc_lo, v20, s10
	v_add_co_ci_u32_e64 v23, null, s11, v21, vcc_lo
	s_add_u32 s10, s10, 1
	s_addc_u32 s11, s11, 0
	v_cmp_eq_u32_e32 vcc_lo, s10, v0
	global_load_ubyte v6, v[22:23], off
	v_mov_b32_e32 v23, s14
	s_waitcnt vmcnt(0)
	v_and_b32_e32 v22, 0xffff, v6
	v_lshlrev_b64 v[22:23], s4, v[22:23]
	s_add_u32 s4, s4, 8
	s_addc_u32 s5, s5, 0
	s_or_b32 s16, vcc_lo, s16
	v_or_b32_e32 v19, v23, v19
	v_or_b32_e32 v18, v22, v18
	s_andn2_b32 exec_lo, exec_lo, s16
	s_cbranch_execnz .LBB8_30
; %bb.31:                               ;   in Loop: Header=BB8_3 Depth=1
	s_or_b32 exec_lo, exec_lo, s16
.LBB8_32:                               ;   in Loop: Header=BB8_3 Depth=1
	s_or_b32 exec_lo, exec_lo, s13
	v_mov_b32_e32 v23, v21
	v_mov_b32_e32 v22, v20
                                        ; implicit-def: $vgpr0
.LBB8_33:                               ;   in Loop: Header=BB8_3 Depth=1
	s_or_saveexec_b32 s4, s12
	v_mov_b32_e32 v6, 0
	s_xor_b32 exec_lo, exec_lo, s4
	s_cbranch_execz .LBB8_35
; %bb.34:                               ;   in Loop: Header=BB8_3 Depth=1
	global_load_dwordx2 v[18:19], v[20:21], off
	v_add_nc_u32_e32 v6, -8, v0
.LBB8_35:                               ;   in Loop: Header=BB8_3 Depth=1
	s_or_b32 exec_lo, exec_lo, s4
	v_add_co_u32 v24, s4, v22, 8
	v_add_co_ci_u32_e64 v25, null, 0, v23, s4
	s_mov_b32 s4, exec_lo
	v_cmpx_gt_u32_e32 8, v6
	s_xor_b32 s12, exec_lo, s4
	s_cbranch_execz .LBB8_41
; %bb.36:                               ;   in Loop: Header=BB8_3 Depth=1
	v_mov_b32_e32 v20, 0
	v_mov_b32_e32 v21, 0
	s_mov_b32 s13, exec_lo
	v_cmpx_ne_u32_e32 0, v6
	s_cbranch_execz .LBB8_40
; %bb.37:                               ;   in Loop: Header=BB8_3 Depth=1
	v_mov_b32_e32 v20, 0
	v_mov_b32_e32 v21, 0
	s_mov_b64 s[4:5], 0
	s_mov_b32 s16, 0
	s_mov_b64 s[10:11], 0
	.p2align	6
.LBB8_38:                               ;   Parent Loop BB8_3 Depth=1
                                        ; =>  This Inner Loop Header: Depth=2
	v_add_co_u32 v24, vcc_lo, v22, s10
	v_add_co_ci_u32_e64 v25, null, s11, v23, vcc_lo
	s_add_u32 s10, s10, 1
	s_addc_u32 s11, s11, 0
	v_cmp_eq_u32_e32 vcc_lo, s10, v6
	global_load_ubyte v0, v[24:25], off
	v_mov_b32_e32 v25, s14
	s_waitcnt vmcnt(0)
	v_and_b32_e32 v24, 0xffff, v0
	v_lshlrev_b64 v[24:25], s4, v[24:25]
	s_add_u32 s4, s4, 8
	s_addc_u32 s5, s5, 0
	s_or_b32 s16, vcc_lo, s16
	v_or_b32_e32 v21, v25, v21
	v_or_b32_e32 v20, v24, v20
	s_andn2_b32 exec_lo, exec_lo, s16
	s_cbranch_execnz .LBB8_38
; %bb.39:                               ;   in Loop: Header=BB8_3 Depth=1
	s_or_b32 exec_lo, exec_lo, s16
.LBB8_40:                               ;   in Loop: Header=BB8_3 Depth=1
	s_or_b32 exec_lo, exec_lo, s13
	v_mov_b32_e32 v25, v23
	v_mov_b32_e32 v24, v22
                                        ; implicit-def: $vgpr6
.LBB8_41:                               ;   in Loop: Header=BB8_3 Depth=1
	s_or_saveexec_b32 s4, s12
	v_mov_b32_e32 v0, 0
	s_xor_b32 exec_lo, exec_lo, s4
	s_cbranch_execz .LBB8_43
; %bb.42:                               ;   in Loop: Header=BB8_3 Depth=1
	global_load_dwordx2 v[20:21], v[22:23], off
	v_add_nc_u32_e32 v0, -8, v6
.LBB8_43:                               ;   in Loop: Header=BB8_3 Depth=1
	s_or_b32 exec_lo, exec_lo, s4
	v_add_co_u32 v26, s4, v24, 8
	v_add_co_ci_u32_e64 v27, null, 0, v25, s4
                                        ; implicit-def: $vgpr22_vgpr23
	s_mov_b32 s4, exec_lo
	v_cmpx_gt_u32_e32 8, v0
	s_xor_b32 s12, exec_lo, s4
	s_cbranch_execz .LBB8_49
; %bb.44:                               ;   in Loop: Header=BB8_3 Depth=1
	v_mov_b32_e32 v22, 0
	v_mov_b32_e32 v23, 0
	s_mov_b32 s13, exec_lo
	v_cmpx_ne_u32_e32 0, v0
	s_cbranch_execz .LBB8_48
; %bb.45:                               ;   in Loop: Header=BB8_3 Depth=1
	v_mov_b32_e32 v22, 0
	v_mov_b32_e32 v23, 0
	s_mov_b64 s[4:5], 0
	s_mov_b32 s16, 0
	s_mov_b64 s[10:11], 0
	.p2align	6
.LBB8_46:                               ;   Parent Loop BB8_3 Depth=1
                                        ; =>  This Inner Loop Header: Depth=2
	v_add_co_u32 v26, vcc_lo, v24, s10
	v_add_co_ci_u32_e64 v27, null, s11, v25, vcc_lo
	s_add_u32 s10, s10, 1
	s_addc_u32 s11, s11, 0
	v_cmp_eq_u32_e32 vcc_lo, s10, v0
	global_load_ubyte v6, v[26:27], off
	v_mov_b32_e32 v27, s14
	s_waitcnt vmcnt(0)
	v_and_b32_e32 v26, 0xffff, v6
	v_lshlrev_b64 v[26:27], s4, v[26:27]
	s_add_u32 s4, s4, 8
	s_addc_u32 s5, s5, 0
	s_or_b32 s16, vcc_lo, s16
	v_or_b32_e32 v23, v27, v23
	v_or_b32_e32 v22, v26, v22
	s_andn2_b32 exec_lo, exec_lo, s16
	s_cbranch_execnz .LBB8_46
; %bb.47:                               ;   in Loop: Header=BB8_3 Depth=1
	s_or_b32 exec_lo, exec_lo, s16
.LBB8_48:                               ;   in Loop: Header=BB8_3 Depth=1
	s_or_b32 exec_lo, exec_lo, s13
	v_mov_b32_e32 v27, v25
	v_mov_b32_e32 v26, v24
                                        ; implicit-def: $vgpr0
.LBB8_49:                               ;   in Loop: Header=BB8_3 Depth=1
	s_or_saveexec_b32 s4, s12
	v_mov_b32_e32 v6, 0
	s_xor_b32 exec_lo, exec_lo, s4
	s_cbranch_execz .LBB8_51
; %bb.50:                               ;   in Loop: Header=BB8_3 Depth=1
	global_load_dwordx2 v[22:23], v[24:25], off
	v_add_nc_u32_e32 v6, -8, v0
.LBB8_51:                               ;   in Loop: Header=BB8_3 Depth=1
	s_or_b32 exec_lo, exec_lo, s4
	s_mov_b32 s4, exec_lo
	v_cmpx_gt_u32_e32 8, v6
	s_xor_b32 s10, exec_lo, s4
	s_cbranch_execz .LBB8_57
; %bb.52:                               ;   in Loop: Header=BB8_3 Depth=1
	v_mov_b32_e32 v24, 0
	v_mov_b32_e32 v25, 0
	s_mov_b32 s11, exec_lo
	v_cmpx_ne_u32_e32 0, v6
	s_cbranch_execz .LBB8_56
; %bb.53:                               ;   in Loop: Header=BB8_3 Depth=1
	v_mov_b32_e32 v24, 0
	v_mov_b32_e32 v25, 0
	s_mov_b64 s[4:5], 0
	s_mov_b32 s12, 0
	.p2align	6
.LBB8_54:                               ;   Parent Loop BB8_3 Depth=1
                                        ; =>  This Inner Loop Header: Depth=2
	global_load_ubyte v0, v[26:27], off
	v_mov_b32_e32 v29, s14
	v_add_nc_u32_e32 v6, -1, v6
	v_add_co_u32 v26, vcc_lo, v26, 1
	v_add_co_ci_u32_e64 v27, null, 0, v27, vcc_lo
	v_cmp_eq_u32_e32 vcc_lo, 0, v6
	s_waitcnt vmcnt(0)
	v_and_b32_e32 v28, 0xffff, v0
	v_lshlrev_b64 v[28:29], s4, v[28:29]
	s_add_u32 s4, s4, 8
	s_addc_u32 s5, s5, 0
	s_or_b32 s12, vcc_lo, s12
	v_or_b32_e32 v25, v29, v25
	v_or_b32_e32 v24, v28, v24
	s_andn2_b32 exec_lo, exec_lo, s12
	s_cbranch_execnz .LBB8_54
; %bb.55:                               ;   in Loop: Header=BB8_3 Depth=1
	s_or_b32 exec_lo, exec_lo, s12
.LBB8_56:                               ;   in Loop: Header=BB8_3 Depth=1
	s_or_b32 exec_lo, exec_lo, s11
                                        ; implicit-def: $vgpr26_vgpr27
.LBB8_57:                               ;   in Loop: Header=BB8_3 Depth=1
	s_andn2_saveexec_b32 s4, s10
	s_cbranch_execz .LBB8_59
; %bb.58:                               ;   in Loop: Header=BB8_3 Depth=1
	global_load_dwordx2 v[24:25], v[26:27], off
.LBB8_59:                               ;   in Loop: Header=BB8_3 Depth=1
	s_or_b32 exec_lo, exec_lo, s4
	v_readfirstlane_b32 s4, v35
	v_mov_b32_e32 v32, 0
	v_mov_b32_e32 v33, 0
	v_cmp_eq_u32_e64 s4, s4, v35
	s_and_saveexec_b32 s5, s4
	s_cbranch_execz .LBB8_65
; %bb.60:                               ;   in Loop: Header=BB8_3 Depth=1
	s_waitcnt lgkmcnt(0)
	global_load_dwordx2 v[28:29], v7, s[6:7] offset:24 glc dlc
	s_waitcnt vmcnt(0)
	buffer_gl1_inv
	buffer_gl0_inv
	s_clause 0x1
	global_load_dwordx2 v[26:27], v7, s[6:7] offset:40
	global_load_dwordx2 v[32:33], v7, s[6:7]
	s_mov_b32 s10, exec_lo
	s_waitcnt vmcnt(1)
	v_and_b32_e32 v0, v27, v29
	v_and_b32_e32 v6, v26, v28
	v_mul_lo_u32 v0, v0, 24
	v_mul_hi_u32 v26, v6, 24
	v_mul_lo_u32 v6, v6, 24
	v_add_nc_u32_e32 v0, v26, v0
	s_waitcnt vmcnt(0)
	v_add_co_u32 v26, vcc_lo, v32, v6
	v_add_co_ci_u32_e64 v27, null, v33, v0, vcc_lo
	global_load_dwordx2 v[26:27], v[26:27], off glc dlc
	s_waitcnt vmcnt(0)
	global_atomic_cmpswap_x2 v[32:33], v7, v[26:29], s[6:7] offset:24 glc
	s_waitcnt vmcnt(0)
	buffer_gl1_inv
	buffer_gl0_inv
	v_cmpx_ne_u64_e64 v[32:33], v[28:29]
	s_cbranch_execz .LBB8_64
; %bb.61:                               ;   in Loop: Header=BB8_3 Depth=1
	s_mov_b32 s11, 0
	.p2align	6
.LBB8_62:                               ;   Parent Loop BB8_3 Depth=1
                                        ; =>  This Inner Loop Header: Depth=2
	s_sleep 1
	s_clause 0x1
	global_load_dwordx2 v[26:27], v7, s[6:7] offset:40
	global_load_dwordx2 v[37:38], v7, s[6:7]
	v_mov_b32_e32 v28, v32
	v_mov_b32_e32 v29, v33
	s_waitcnt vmcnt(1)
	v_and_b32_e32 v0, v26, v28
	v_and_b32_e32 v6, v27, v29
	s_waitcnt vmcnt(0)
	v_mad_u64_u32 v[32:33], null, v0, 24, v[37:38]
	v_mov_b32_e32 v0, v33
	v_mad_u64_u32 v[26:27], null, v6, 24, v[0:1]
	v_mov_b32_e32 v33, v26
	global_load_dwordx2 v[26:27], v[32:33], off glc dlc
	s_waitcnt vmcnt(0)
	global_atomic_cmpswap_x2 v[32:33], v7, v[26:29], s[6:7] offset:24 glc
	s_waitcnt vmcnt(0)
	buffer_gl1_inv
	buffer_gl0_inv
	v_cmp_eq_u64_e32 vcc_lo, v[32:33], v[28:29]
	s_or_b32 s11, vcc_lo, s11
	s_andn2_b32 exec_lo, exec_lo, s11
	s_cbranch_execnz .LBB8_62
; %bb.63:                               ;   in Loop: Header=BB8_3 Depth=1
	s_or_b32 exec_lo, exec_lo, s11
.LBB8_64:                               ;   in Loop: Header=BB8_3 Depth=1
	s_or_b32 exec_lo, exec_lo, s10
.LBB8_65:                               ;   in Loop: Header=BB8_3 Depth=1
	s_or_b32 exec_lo, exec_lo, s5
	s_waitcnt lgkmcnt(0)
	s_clause 0x1
	global_load_dwordx2 v[37:38], v7, s[6:7] offset:40
	global_load_dwordx4 v[26:29], v7, s[6:7]
	v_readfirstlane_b32 s11, v33
	v_readfirstlane_b32 s10, v32
	s_mov_b32 s5, exec_lo
	s_waitcnt vmcnt(1)
	v_readfirstlane_b32 s12, v37
	v_readfirstlane_b32 s13, v38
	s_and_b64 s[12:13], s[12:13], s[10:11]
	s_mul_i32 s16, s13, 24
	s_mul_hi_u32 s17, s12, 24
	s_mul_i32 s18, s12, 24
	s_add_i32 s17, s17, s16
	s_waitcnt vmcnt(0)
	v_add_co_u32 v32, vcc_lo, v26, s18
	v_add_co_ci_u32_e64 v33, null, s17, v27, vcc_lo
	s_and_saveexec_b32 s16, s4
	s_cbranch_execz .LBB8_67
; %bb.66:                               ;   in Loop: Header=BB8_3 Depth=1
	v_mov_b32_e32 v6, s5
	global_store_dwordx4 v[32:33], v[6:9], off offset:8
.LBB8_67:                               ;   in Loop: Header=BB8_3 Depth=1
	s_or_b32 exec_lo, exec_lo, s16
	v_cmp_gt_u64_e32 vcc_lo, 57, v[4:5]
	s_lshl_b64 s[12:13], s[12:13], 12
	v_and_b32_e32 v10, 0xffffff1f, v10
	v_lshl_add_u32 v37, v30, 2, 28
	v_cndmask_b32_e32 v6, 0, v36, vcc_lo
	v_add_co_u32 v0, vcc_lo, v28, s12
	v_add_co_ci_u32_e64 v28, null, s13, v29, vcc_lo
	v_or_b32_e32 v6, v10, v6
	v_lshlrev_b32_e32 v29, 6, v35
	v_readfirstlane_b32 s12, v0
	v_readfirstlane_b32 s13, v28
	v_and_or_b32 v10, 0x1e0, v37, v6
	global_store_dwordx4 v29, v[14:17], s[12:13] offset:16
	global_store_dwordx4 v29, v[10:13], s[12:13]
	global_store_dwordx4 v29, v[18:21], s[12:13] offset:32
	global_store_dwordx4 v29, v[22:25], s[12:13] offset:48
	s_and_saveexec_b32 s5, s4
	s_cbranch_execz .LBB8_75
; %bb.68:                               ;   in Loop: Header=BB8_3 Depth=1
	s_clause 0x1
	global_load_dwordx2 v[18:19], v7, s[6:7] offset:32 glc dlc
	global_load_dwordx2 v[10:11], v7, s[6:7] offset:40
	v_mov_b32_e32 v16, s10
	v_mov_b32_e32 v17, s11
	s_waitcnt vmcnt(0)
	v_readfirstlane_b32 s12, v10
	v_readfirstlane_b32 s13, v11
	s_and_b64 s[12:13], s[12:13], s[10:11]
	s_mul_i32 s13, s13, 24
	s_mul_hi_u32 s16, s12, 24
	s_mul_i32 s12, s12, 24
	s_add_i32 s16, s16, s13
	v_add_co_u32 v14, vcc_lo, v26, s12
	v_add_co_ci_u32_e64 v15, null, s16, v27, vcc_lo
	s_mov_b32 s12, exec_lo
	global_store_dwordx2 v[14:15], v[18:19], off
	s_waitcnt_vscnt null, 0x0
	global_atomic_cmpswap_x2 v[12:13], v7, v[16:19], s[6:7] offset:32 glc
	s_waitcnt vmcnt(0)
	v_cmpx_ne_u64_e64 v[12:13], v[18:19]
	s_cbranch_execz .LBB8_71
; %bb.69:                               ;   in Loop: Header=BB8_3 Depth=1
	s_mov_b32 s13, 0
.LBB8_70:                               ;   Parent Loop BB8_3 Depth=1
                                        ; =>  This Inner Loop Header: Depth=2
	v_mov_b32_e32 v10, s10
	v_mov_b32_e32 v11, s11
	s_sleep 1
	global_store_dwordx2 v[14:15], v[12:13], off
	s_waitcnt_vscnt null, 0x0
	global_atomic_cmpswap_x2 v[10:11], v7, v[10:13], s[6:7] offset:32 glc
	s_waitcnt vmcnt(0)
	v_cmp_eq_u64_e32 vcc_lo, v[10:11], v[12:13]
	v_mov_b32_e32 v13, v11
	v_mov_b32_e32 v12, v10
	s_or_b32 s13, vcc_lo, s13
	s_andn2_b32 exec_lo, exec_lo, s13
	s_cbranch_execnz .LBB8_70
.LBB8_71:                               ;   in Loop: Header=BB8_3 Depth=1
	s_or_b32 exec_lo, exec_lo, s12
	global_load_dwordx2 v[10:11], v7, s[6:7] offset:16
	s_mov_b32 s13, exec_lo
	s_mov_b32 s12, exec_lo
	v_mbcnt_lo_u32_b32 v6, s13, 0
	v_cmpx_eq_u32_e32 0, v6
	s_cbranch_execz .LBB8_73
; %bb.72:                               ;   in Loop: Header=BB8_3 Depth=1
	s_bcnt1_i32_b32 s13, s13
	v_mov_b32_e32 v6, s13
	s_waitcnt vmcnt(0)
	global_atomic_add_x2 v[10:11], v[6:7], off offset:8
.LBB8_73:                               ;   in Loop: Header=BB8_3 Depth=1
	s_or_b32 exec_lo, exec_lo, s12
	s_waitcnt vmcnt(0)
	global_load_dwordx2 v[12:13], v[10:11], off offset:16
	s_waitcnt vmcnt(0)
	v_cmp_eq_u64_e32 vcc_lo, 0, v[12:13]
	s_cbranch_vccnz .LBB8_75
; %bb.74:                               ;   in Loop: Header=BB8_3 Depth=1
	global_load_dword v6, v[10:11], off offset:24
	s_waitcnt vmcnt(0)
	v_readfirstlane_b32 s12, v6
	s_waitcnt_vscnt null, 0x0
	global_store_dwordx2 v[12:13], v[6:7], off
	s_and_b32 m0, s12, 0x7fffff
	s_sendmsg sendmsg(MSG_INTERRUPT)
.LBB8_75:                               ;   in Loop: Header=BB8_3 Depth=1
	s_or_b32 exec_lo, exec_lo, s5
	v_add_co_u32 v10, vcc_lo, v0, v29
	v_add_co_ci_u32_e64 v11, null, 0, v28, vcc_lo
	s_branch .LBB8_79
	.p2align	6
.LBB8_76:                               ;   in Loop: Header=BB8_79 Depth=2
	s_or_b32 exec_lo, exec_lo, s5
	v_readfirstlane_b32 s5, v0
	s_cmp_eq_u32 s5, 0
	s_cbranch_scc1 .LBB8_78
; %bb.77:                               ;   in Loop: Header=BB8_79 Depth=2
	s_sleep 1
	s_cbranch_execnz .LBB8_79
	s_branch .LBB8_81
	.p2align	6
.LBB8_78:                               ;   in Loop: Header=BB8_3 Depth=1
	s_branch .LBB8_81
.LBB8_79:                               ;   Parent Loop BB8_3 Depth=1
                                        ; =>  This Inner Loop Header: Depth=2
	v_mov_b32_e32 v0, 1
	s_and_saveexec_b32 s5, s4
	s_cbranch_execz .LBB8_76
; %bb.80:                               ;   in Loop: Header=BB8_79 Depth=2
	global_load_dword v0, v[32:33], off offset:20 glc dlc
	s_waitcnt vmcnt(0)
	buffer_gl1_inv
	buffer_gl0_inv
	v_and_b32_e32 v0, 1, v0
	s_branch .LBB8_76
.LBB8_81:                               ;   in Loop: Header=BB8_3 Depth=1
	global_load_dwordx4 v[10:13], v[10:11], off
	s_and_saveexec_b32 s12, s4
	s_cbranch_execz .LBB8_2
; %bb.82:                               ;   in Loop: Header=BB8_3 Depth=1
	s_clause 0x2
	global_load_dwordx2 v[12:13], v7, s[6:7] offset:40
	global_load_dwordx2 v[20:21], v7, s[6:7] offset:24 glc dlc
	global_load_dwordx2 v[14:15], v7, s[6:7]
	s_waitcnt vmcnt(2)
	v_readfirstlane_b32 s16, v12
	v_readfirstlane_b32 s17, v13
	s_add_u32 s13, s16, 1
	s_addc_u32 s18, s17, 0
	s_add_u32 s4, s13, s10
	s_addc_u32 s5, s18, s11
	s_cmp_eq_u64 s[4:5], 0
	s_cselect_b32 s5, s18, s5
	s_cselect_b32 s4, s13, s4
	v_mov_b32_e32 v19, s5
	s_and_b64 s[10:11], s[4:5], s[16:17]
	v_mov_b32_e32 v18, s4
	s_mul_i32 s11, s11, 24
	s_mul_hi_u32 s13, s10, 24
	s_mul_i32 s10, s10, 24
	s_add_i32 s13, s13, s11
	s_waitcnt vmcnt(0)
	v_add_co_u32 v16, vcc_lo, v14, s10
	v_add_co_ci_u32_e64 v17, null, s13, v15, vcc_lo
	global_store_dwordx2 v[16:17], v[20:21], off
	s_waitcnt_vscnt null, 0x0
	global_atomic_cmpswap_x2 v[14:15], v7, v[18:21], s[6:7] offset:24 glc
	s_waitcnt vmcnt(0)
	v_cmp_ne_u64_e32 vcc_lo, v[14:15], v[20:21]
	s_and_b32 exec_lo, exec_lo, vcc_lo
	s_cbranch_execz .LBB8_2
; %bb.83:                               ;   in Loop: Header=BB8_3 Depth=1
	s_mov_b32 s10, 0
.LBB8_84:                               ;   Parent Loop BB8_3 Depth=1
                                        ; =>  This Inner Loop Header: Depth=2
	v_mov_b32_e32 v12, s4
	v_mov_b32_e32 v13, s5
	s_sleep 1
	global_store_dwordx2 v[16:17], v[14:15], off
	s_waitcnt_vscnt null, 0x0
	global_atomic_cmpswap_x2 v[12:13], v7, v[12:15], s[6:7] offset:24 glc
	s_waitcnt vmcnt(0)
	v_cmp_eq_u64_e32 vcc_lo, v[12:13], v[14:15]
	v_mov_b32_e32 v15, v13
	v_mov_b32_e32 v14, v12
	s_or_b32 s10, vcc_lo, s10
	s_andn2_b32 exec_lo, exec_lo, s10
	s_cbranch_execnz .LBB8_84
	s_branch .LBB8_2
.LBB8_85:
	s_or_b32 exec_lo, exec_lo, s15
	s_branch .LBB8_114
.LBB8_86:
	s_load_dwordx2 s[6:7], s[8:9], 0x50
	v_readfirstlane_b32 s4, v35
	v_mov_b32_e32 v8, 0
	v_mov_b32_e32 v9, 0
	v_cmp_eq_u32_e64 s4, s4, v35
	s_and_saveexec_b32 s5, s4
	s_cbranch_execz .LBB8_92
; %bb.87:
	v_mov_b32_e32 v0, 0
	s_mov_b32 s8, exec_lo
	s_waitcnt lgkmcnt(0)
	global_load_dwordx2 v[4:5], v0, s[6:7] offset:24 glc dlc
	s_waitcnt vmcnt(0)
	buffer_gl1_inv
	buffer_gl0_inv
	s_clause 0x1
	global_load_dwordx2 v[2:3], v0, s[6:7] offset:40
	global_load_dwordx2 v[6:7], v0, s[6:7]
	s_waitcnt vmcnt(1)
	v_and_b32_e32 v3, v3, v5
	v_and_b32_e32 v2, v2, v4
	v_mul_lo_u32 v3, v3, 24
	v_mul_hi_u32 v8, v2, 24
	v_mul_lo_u32 v2, v2, 24
	v_add_nc_u32_e32 v3, v8, v3
	s_waitcnt vmcnt(0)
	v_add_co_u32 v2, vcc_lo, v6, v2
	v_add_co_ci_u32_e64 v3, null, v7, v3, vcc_lo
	global_load_dwordx2 v[2:3], v[2:3], off glc dlc
	s_waitcnt vmcnt(0)
	global_atomic_cmpswap_x2 v[8:9], v0, v[2:5], s[6:7] offset:24 glc
	s_waitcnt vmcnt(0)
	buffer_gl1_inv
	buffer_gl0_inv
	v_cmpx_ne_u64_e64 v[8:9], v[4:5]
	s_cbranch_execz .LBB8_91
; %bb.88:
	s_mov_b32 s9, 0
	.p2align	6
.LBB8_89:                               ; =>This Inner Loop Header: Depth=1
	s_sleep 1
	s_clause 0x1
	global_load_dwordx2 v[2:3], v0, s[6:7] offset:40
	global_load_dwordx2 v[6:7], v0, s[6:7]
	v_mov_b32_e32 v4, v8
	v_mov_b32_e32 v5, v9
	s_waitcnt vmcnt(1)
	v_and_b32_e32 v2, v2, v4
	v_and_b32_e32 v3, v3, v5
	s_waitcnt vmcnt(0)
	v_mad_u64_u32 v[6:7], null, v2, 24, v[6:7]
	v_mov_b32_e32 v2, v7
	v_mad_u64_u32 v[2:3], null, v3, 24, v[2:3]
	v_mov_b32_e32 v7, v2
	global_load_dwordx2 v[2:3], v[6:7], off glc dlc
	s_waitcnt vmcnt(0)
	global_atomic_cmpswap_x2 v[8:9], v0, v[2:5], s[6:7] offset:24 glc
	s_waitcnt vmcnt(0)
	buffer_gl1_inv
	buffer_gl0_inv
	v_cmp_eq_u64_e32 vcc_lo, v[8:9], v[4:5]
	s_or_b32 s9, vcc_lo, s9
	s_andn2_b32 exec_lo, exec_lo, s9
	s_cbranch_execnz .LBB8_89
; %bb.90:
	s_or_b32 exec_lo, exec_lo, s9
.LBB8_91:
	s_or_b32 exec_lo, exec_lo, s8
.LBB8_92:
	s_or_b32 exec_lo, exec_lo, s5
	v_mov_b32_e32 v2, 0
	v_readfirstlane_b32 s9, v9
	v_readfirstlane_b32 s8, v8
	s_mov_b32 s5, exec_lo
	s_waitcnt lgkmcnt(0)
	s_clause 0x1
	global_load_dwordx2 v[10:11], v2, s[6:7] offset:40
	global_load_dwordx4 v[4:7], v2, s[6:7]
	s_waitcnt vmcnt(1)
	v_readfirstlane_b32 s10, v10
	v_readfirstlane_b32 s11, v11
	s_and_b64 s[10:11], s[10:11], s[8:9]
	s_mul_i32 s12, s11, 24
	s_mul_hi_u32 s13, s10, 24
	s_mul_i32 s14, s10, 24
	s_add_i32 s13, s13, s12
	s_waitcnt vmcnt(0)
	v_add_co_u32 v8, vcc_lo, v4, s14
	v_add_co_ci_u32_e64 v9, null, s13, v5, vcc_lo
	s_and_saveexec_b32 s12, s4
	s_cbranch_execz .LBB8_94
; %bb.93:
	v_mov_b32_e32 v10, s5
	v_mov_b32_e32 v11, v2
	;; [unrolled: 1-line block ×4, first 2 shown]
	global_store_dwordx4 v[8:9], v[10:13], off offset:8
.LBB8_94:
	s_or_b32 exec_lo, exec_lo, s12
	s_lshl_b64 s[10:11], s[10:11], 12
	s_mov_b32 s12, 0
	v_add_co_u32 v6, vcc_lo, v6, s10
	v_add_co_ci_u32_e64 v7, null, s11, v7, vcc_lo
	s_mov_b32 s13, s12
	s_mov_b32 s14, s12
	;; [unrolled: 1-line block ×3, first 2 shown]
	v_and_or_b32 v0, 0xffffff1f, v34, 32
	v_lshlrev_b32_e32 v14, 6, v35
	v_mov_b32_e32 v3, v2
	v_readfirstlane_b32 s10, v6
	v_readfirstlane_b32 s11, v7
	v_mov_b32_e32 v10, s12
	v_mov_b32_e32 v11, s13
	;; [unrolled: 1-line block ×4, first 2 shown]
	global_store_dwordx4 v14, v[0:3], s[10:11]
	global_store_dwordx4 v14, v[10:13], s[10:11] offset:16
	global_store_dwordx4 v14, v[10:13], s[10:11] offset:32
	;; [unrolled: 1-line block ×3, first 2 shown]
	s_and_saveexec_b32 s5, s4
	s_cbranch_execz .LBB8_102
; %bb.95:
	v_mov_b32_e32 v6, 0
	v_mov_b32_e32 v10, s8
	;; [unrolled: 1-line block ×3, first 2 shown]
	s_mov_b32 s10, exec_lo
	s_clause 0x1
	global_load_dwordx2 v[12:13], v6, s[6:7] offset:32 glc dlc
	global_load_dwordx2 v[0:1], v6, s[6:7] offset:40
	s_waitcnt vmcnt(0)
	v_and_b32_e32 v1, s9, v1
	v_and_b32_e32 v0, s8, v0
	v_mul_lo_u32 v1, v1, 24
	v_mul_hi_u32 v2, v0, 24
	v_mul_lo_u32 v0, v0, 24
	v_add_nc_u32_e32 v1, v2, v1
	v_add_co_u32 v4, vcc_lo, v4, v0
	v_add_co_ci_u32_e64 v5, null, v5, v1, vcc_lo
	global_store_dwordx2 v[4:5], v[12:13], off
	s_waitcnt_vscnt null, 0x0
	global_atomic_cmpswap_x2 v[2:3], v6, v[10:13], s[6:7] offset:32 glc
	s_waitcnt vmcnt(0)
	v_cmpx_ne_u64_e64 v[2:3], v[12:13]
	s_cbranch_execz .LBB8_98
; %bb.96:
	s_mov_b32 s11, 0
.LBB8_97:                               ; =>This Inner Loop Header: Depth=1
	v_mov_b32_e32 v0, s8
	v_mov_b32_e32 v1, s9
	s_sleep 1
	global_store_dwordx2 v[4:5], v[2:3], off
	s_waitcnt_vscnt null, 0x0
	global_atomic_cmpswap_x2 v[0:1], v6, v[0:3], s[6:7] offset:32 glc
	s_waitcnt vmcnt(0)
	v_cmp_eq_u64_e32 vcc_lo, v[0:1], v[2:3]
	v_mov_b32_e32 v3, v1
	v_mov_b32_e32 v2, v0
	s_or_b32 s11, vcc_lo, s11
	s_andn2_b32 exec_lo, exec_lo, s11
	s_cbranch_execnz .LBB8_97
.LBB8_98:
	s_or_b32 exec_lo, exec_lo, s10
	v_mov_b32_e32 v3, 0
	s_mov_b32 s11, exec_lo
	s_mov_b32 s10, exec_lo
	v_mbcnt_lo_u32_b32 v2, s11, 0
	global_load_dwordx2 v[0:1], v3, s[6:7] offset:16
	v_cmpx_eq_u32_e32 0, v2
	s_cbranch_execz .LBB8_100
; %bb.99:
	s_bcnt1_i32_b32 s11, s11
	v_mov_b32_e32 v2, s11
	s_waitcnt vmcnt(0)
	global_atomic_add_x2 v[0:1], v[2:3], off offset:8
.LBB8_100:
	s_or_b32 exec_lo, exec_lo, s10
	s_waitcnt vmcnt(0)
	global_load_dwordx2 v[2:3], v[0:1], off offset:16
	s_waitcnt vmcnt(0)
	v_cmp_eq_u64_e32 vcc_lo, 0, v[2:3]
	s_cbranch_vccnz .LBB8_102
; %bb.101:
	global_load_dword v0, v[0:1], off offset:24
	v_mov_b32_e32 v1, 0
	s_waitcnt vmcnt(0)
	v_readfirstlane_b32 s10, v0
	s_waitcnt_vscnt null, 0x0
	global_store_dwordx2 v[2:3], v[0:1], off
	s_and_b32 m0, s10, 0x7fffff
	s_sendmsg sendmsg(MSG_INTERRUPT)
.LBB8_102:
	s_or_b32 exec_lo, exec_lo, s5
	s_branch .LBB8_106
	.p2align	6
.LBB8_103:                              ;   in Loop: Header=BB8_106 Depth=1
	s_or_b32 exec_lo, exec_lo, s5
	v_readfirstlane_b32 s5, v0
	s_cmp_eq_u32 s5, 0
	s_cbranch_scc1 .LBB8_105
; %bb.104:                              ;   in Loop: Header=BB8_106 Depth=1
	s_sleep 1
	s_cbranch_execnz .LBB8_106
	s_branch .LBB8_108
	.p2align	6
.LBB8_105:
	s_branch .LBB8_108
.LBB8_106:                              ; =>This Inner Loop Header: Depth=1
	v_mov_b32_e32 v0, 1
	s_and_saveexec_b32 s5, s4
	s_cbranch_execz .LBB8_103
; %bb.107:                              ;   in Loop: Header=BB8_106 Depth=1
	global_load_dword v0, v[8:9], off offset:20 glc dlc
	s_waitcnt vmcnt(0)
	buffer_gl1_inv
	buffer_gl0_inv
	v_and_b32_e32 v0, 1, v0
	s_branch .LBB8_103
.LBB8_108:
	s_and_saveexec_b32 s10, s4
	s_cbranch_execz .LBB8_112
; %bb.109:
	v_mov_b32_e32 v6, 0
	s_clause 0x2
	global_load_dwordx2 v[0:1], v6, s[6:7] offset:40
	global_load_dwordx2 v[9:10], v6, s[6:7] offset:24 glc dlc
	global_load_dwordx2 v[2:3], v6, s[6:7]
	s_waitcnt vmcnt(2)
	v_readfirstlane_b32 s12, v0
	v_readfirstlane_b32 s13, v1
	s_add_u32 s11, s12, 1
	s_addc_u32 s14, s13, 0
	s_add_u32 s4, s11, s8
	s_addc_u32 s5, s14, s9
	s_cmp_eq_u64 s[4:5], 0
	s_cselect_b32 s5, s14, s5
	s_cselect_b32 s4, s11, s4
	v_mov_b32_e32 v8, s5
	s_and_b64 s[8:9], s[4:5], s[12:13]
	v_mov_b32_e32 v7, s4
	s_mul_i32 s9, s9, 24
	s_mul_hi_u32 s11, s8, 24
	s_mul_i32 s8, s8, 24
	s_add_i32 s11, s11, s9
	s_waitcnt vmcnt(0)
	v_add_co_u32 v4, vcc_lo, v2, s8
	v_add_co_ci_u32_e64 v5, null, s11, v3, vcc_lo
	global_store_dwordx2 v[4:5], v[9:10], off
	s_waitcnt_vscnt null, 0x0
	global_atomic_cmpswap_x2 v[2:3], v6, v[7:10], s[6:7] offset:24 glc
	s_waitcnt vmcnt(0)
	v_cmp_ne_u64_e32 vcc_lo, v[2:3], v[9:10]
	s_and_b32 exec_lo, exec_lo, vcc_lo
	s_cbranch_execz .LBB8_112
; %bb.110:
	s_mov_b32 s8, 0
.LBB8_111:                              ; =>This Inner Loop Header: Depth=1
	v_mov_b32_e32 v0, s4
	v_mov_b32_e32 v1, s5
	s_sleep 1
	global_store_dwordx2 v[4:5], v[2:3], off
	s_waitcnt_vscnt null, 0x0
	global_atomic_cmpswap_x2 v[0:1], v6, v[0:3], s[6:7] offset:24 glc
	s_waitcnt vmcnt(0)
	v_cmp_eq_u64_e32 vcc_lo, v[0:1], v[2:3]
	v_mov_b32_e32 v3, v1
	v_mov_b32_e32 v2, v0
	s_or_b32 s8, vcc_lo, s8
	s_andn2_b32 exec_lo, exec_lo, s8
	s_cbranch_execnz .LBB8_111
.LBB8_112:
	s_or_b32 exec_lo, exec_lo, s10
	s_waitcnt lgkmcnt(0)
	s_setpc_b64 s[30:31]
.LBB8_113:
	s_cbranch_execnz .LBB8_86
.LBB8_114:
	s_waitcnt vmcnt(0) lgkmcnt(0)
	s_setpc_b64 s[30:31]
.Lfunc_end8:
	.size	__ockl_fprintf_append_string_n, .Lfunc_end8-__ockl_fprintf_append_string_n
                                        ; -- End function
	.set .L__ockl_fprintf_append_string_n.num_vgpr, 39
	.set .L__ockl_fprintf_append_string_n.num_agpr, 0
	.set .L__ockl_fprintf_append_string_n.numbered_sgpr, 32
	.set .L__ockl_fprintf_append_string_n.num_named_barrier, 0
	.set .L__ockl_fprintf_append_string_n.private_seg_size, 0
	.set .L__ockl_fprintf_append_string_n.uses_vcc, 1
	.set .L__ockl_fprintf_append_string_n.uses_flat_scratch, 0
	.set .L__ockl_fprintf_append_string_n.has_dyn_sized_stack, 0
	.set .L__ockl_fprintf_append_string_n.has_recursion, 0
	.set .L__ockl_fprintf_append_string_n.has_indirect_call, 0
	.section	.AMDGPU.csdata,"",@progbits
; Function info:
; codeLenInByte = 4528
; TotalNumSgprs: 34
; NumVgprs: 39
; ScratchSize: 0
; MemoryBound: 0
	.text
	.p2align	2                               ; -- Begin function __assert_fail
	.type	__assert_fail,@function
__assert_fail:                          ; @__assert_fail
; %bb.0:
	s_waitcnt vmcnt(0) expcnt(0) lgkmcnt(0)
	s_mov_b32 s24, s33
	s_mov_b32 s33, s32
	s_or_saveexec_b32 s4, -1
	buffer_store_dword v40, off, s[0:3], s33 offset:48 ; 4-byte Folded Spill
	s_mov_b32 exec_lo, s4
	v_writelane_b32 v40, s30, 0
	s_addk_i32 s32, 0x800
	v_writelane_b32 v40, s31, 1
	v_mov_b32_e32 v3, 0
	s_getpc_b64 s[4:5]
	s_add_u32 s4, s4, __const.__assert_fail.fmt@rel32@lo+35
	s_addc_u32 s5, s5, __const.__assert_fail.fmt@rel32@hi+43
	v_mbcnt_lo_u32_b32 v34, -1, 0
	v_mov_b32_e32 v5, v2
	v_mov_b32_e32 v4, v1
	global_load_dwordx4 v[6:9], v3, s[4:5]
	s_getpc_b64 s[4:5]
	s_add_u32 s4, s4, __const.__assert_fail.fmt@rel32@lo+4
	s_addc_u32 s5, s5, __const.__assert_fail.fmt@rel32@hi+12
	s_getpc_b64 s[6:7]
	s_add_u32 s6, s6, __const.__assert_fail.fmt@rel32@lo+20
	s_addc_u32 s7, s7, __const.__assert_fail.fmt@rel32@hi+28
	s_clause 0x1
	s_load_dwordx4 s[12:15], s[4:5], 0x0
	s_load_dwordx4 s[16:19], s[6:7], 0x0
	s_load_dwordx2 s[6:7], s[8:9], 0x50
	v_readfirstlane_b32 s4, v34
	v_mov_b32_e32 v1, 0
	v_mov_b32_e32 v2, 0
	v_cmp_eq_u32_e64 s4, s4, v34
	s_waitcnt lgkmcnt(0)
	v_mov_b32_e32 v10, s15
	v_mov_b32_e32 v11, s14
	v_mov_b32_e32 v12, s13
	v_mov_b32_e32 v13, s12
	v_mov_b32_e32 v14, s19
	v_mov_b32_e32 v15, s18
	v_mov_b32_e32 v16, s17
	v_mov_b32_e32 v17, s16
	buffer_store_dword v10, off, s[0:3], s33 offset:12
	buffer_store_dword v11, off, s[0:3], s33 offset:8
	;; [unrolled: 1-line block ×3, first 2 shown]
	buffer_store_dword v13, off, s[0:3], s33
	buffer_store_dword v14, off, s[0:3], s33 offset:28
	buffer_store_dword v15, off, s[0:3], s33 offset:24
	;; [unrolled: 1-line block ×4, first 2 shown]
	s_waitcnt vmcnt(0)
	buffer_store_dword v9, off, s[0:3], s33 offset:43
	buffer_store_dword v8, off, s[0:3], s33 offset:39
	;; [unrolled: 1-line block ×4, first 2 shown]
	s_and_saveexec_b32 s5, s4
	s_cbranch_execz .LBB9_6
; %bb.1:
	global_load_dwordx2 v[8:9], v3, s[6:7] offset:24 glc dlc
	s_waitcnt vmcnt(0)
	buffer_gl1_inv
	buffer_gl0_inv
	s_clause 0x1
	global_load_dwordx2 v[1:2], v3, s[6:7] offset:40
	global_load_dwordx2 v[6:7], v3, s[6:7]
	s_mov_b32 s10, exec_lo
	s_waitcnt vmcnt(1)
	v_and_b32_e32 v2, v2, v9
	v_and_b32_e32 v1, v1, v8
	v_mul_lo_u32 v2, v2, 24
	v_mul_hi_u32 v10, v1, 24
	v_mul_lo_u32 v1, v1, 24
	v_add_nc_u32_e32 v2, v10, v2
	s_waitcnt vmcnt(0)
	v_add_co_u32 v1, vcc_lo, v6, v1
	v_add_co_ci_u32_e64 v2, null, v7, v2, vcc_lo
	global_load_dwordx2 v[6:7], v[1:2], off glc dlc
	s_waitcnt vmcnt(0)
	global_atomic_cmpswap_x2 v[1:2], v3, v[6:9], s[6:7] offset:24 glc
	s_waitcnt vmcnt(0)
	buffer_gl1_inv
	buffer_gl0_inv
	v_cmpx_ne_u64_e64 v[1:2], v[8:9]
	s_cbranch_execz .LBB9_5
; %bb.2:
	v_mov_b32_e32 v6, 0
	s_mov_b32 s11, 0
	.p2align	6
.LBB9_3:                                ; =>This Inner Loop Header: Depth=1
	s_sleep 1
	s_clause 0x1
	global_load_dwordx2 v[7:8], v6, s[6:7] offset:40
	global_load_dwordx2 v[11:12], v6, s[6:7]
	v_mov_b32_e32 v10, v2
	v_mov_b32_e32 v9, v1
	s_waitcnt vmcnt(1)
	v_and_b32_e32 v1, v7, v9
	v_and_b32_e32 v7, v8, v10
	s_waitcnt vmcnt(0)
	v_mad_u64_u32 v[1:2], null, v1, 24, v[11:12]
	v_mad_u64_u32 v[7:8], null, v7, 24, v[2:3]
	v_mov_b32_e32 v2, v7
	global_load_dwordx2 v[7:8], v[1:2], off glc dlc
	s_waitcnt vmcnt(0)
	global_atomic_cmpswap_x2 v[1:2], v6, v[7:10], s[6:7] offset:24 glc
	s_waitcnt vmcnt(0)
	buffer_gl1_inv
	buffer_gl0_inv
	v_cmp_eq_u64_e32 vcc_lo, v[1:2], v[9:10]
	s_or_b32 s11, vcc_lo, s11
	s_andn2_b32 exec_lo, exec_lo, s11
	s_cbranch_execnz .LBB9_3
; %bb.4:
	s_or_b32 exec_lo, exec_lo, s11
.LBB9_5:
	s_or_b32 exec_lo, exec_lo, s10
.LBB9_6:
	s_or_b32 exec_lo, exec_lo, s5
	s_clause 0x1
	global_load_dwordx2 v[10:11], v3, s[6:7] offset:40
	global_load_dwordx4 v[6:9], v3, s[6:7]
	v_readfirstlane_b32 s11, v2
	v_readfirstlane_b32 s10, v1
	s_mov_b32 s5, exec_lo
	s_waitcnt vmcnt(1)
	v_readfirstlane_b32 s12, v10
	v_readfirstlane_b32 s13, v11
	s_and_b64 s[12:13], s[12:13], s[10:11]
	s_mul_i32 s14, s13, 24
	s_mul_hi_u32 s15, s12, 24
	s_mul_i32 s16, s12, 24
	s_add_i32 s15, s15, s14
	s_waitcnt vmcnt(0)
	v_add_co_u32 v1, vcc_lo, v6, s16
	v_add_co_ci_u32_e64 v2, null, s15, v7, vcc_lo
	s_and_saveexec_b32 s14, s4
	s_cbranch_execz .LBB9_8
; %bb.7:
	v_mov_b32_e32 v10, s5
	v_mov_b32_e32 v11, 0
	;; [unrolled: 1-line block ×4, first 2 shown]
	global_store_dwordx4 v[1:2], v[10:13], off offset:8
.LBB9_8:
	s_or_b32 exec_lo, exec_lo, s14
	s_lshl_b64 s[12:13], s[12:13], 12
	v_lshlrev_b32_e32 v35, 6, v34
	v_add_co_u32 v3, vcc_lo, v8, s12
	v_add_co_ci_u32_e64 v13, null, s13, v9, vcc_lo
	v_mov_b32_e32 v9, 0
	s_mov_b32 s12, 0
	v_add_co_u32 v12, vcc_lo, v3, v35
	s_mov_b32 s15, s12
	s_mov_b32 s13, s12
	;; [unrolled: 1-line block ×3, first 2 shown]
	v_mov_b32_e32 v8, 33
	v_mov_b32_e32 v10, 1
	;; [unrolled: 1-line block ×3, first 2 shown]
	v_readfirstlane_b32 s16, v3
	v_readfirstlane_b32 s17, v13
	v_mov_b32_e32 v17, s15
	v_add_co_ci_u32_e64 v13, null, 0, v13, vcc_lo
	v_mov_b32_e32 v16, s14
	v_mov_b32_e32 v15, s13
	;; [unrolled: 1-line block ×3, first 2 shown]
	global_store_dwordx4 v35, v[8:11], s[16:17]
	global_store_dwordx4 v35, v[14:17], s[16:17] offset:16
	global_store_dwordx4 v35, v[14:17], s[16:17] offset:32
	;; [unrolled: 1-line block ×3, first 2 shown]
	s_and_saveexec_b32 s5, s4
	s_cbranch_execz .LBB9_16
; %bb.9:
	s_clause 0x1
	global_load_dwordx2 v[16:17], v9, s[6:7] offset:32 glc dlc
	global_load_dwordx2 v[10:11], v9, s[6:7] offset:40
	v_mov_b32_e32 v14, s10
	v_mov_b32_e32 v15, s11
	s_mov_b32 s12, exec_lo
	s_waitcnt vmcnt(0)
	v_and_b32_e32 v3, s11, v11
	v_and_b32_e32 v8, s10, v10
	v_mul_lo_u32 v3, v3, 24
	v_mul_hi_u32 v10, v8, 24
	v_mul_lo_u32 v8, v8, 24
	v_add_nc_u32_e32 v3, v10, v3
	v_add_co_u32 v10, vcc_lo, v6, v8
	v_add_co_ci_u32_e64 v11, null, v7, v3, vcc_lo
	global_store_dwordx2 v[10:11], v[16:17], off
	s_waitcnt_vscnt null, 0x0
	global_atomic_cmpswap_x2 v[8:9], v9, v[14:17], s[6:7] offset:32 glc
	s_waitcnt vmcnt(0)
	v_cmpx_ne_u64_e64 v[8:9], v[16:17]
	s_cbranch_execz .LBB9_12
; %bb.10:
	v_mov_b32_e32 v3, 0
	s_mov_b32 s13, 0
.LBB9_11:                               ; =>This Inner Loop Header: Depth=1
	v_mov_b32_e32 v6, s10
	v_mov_b32_e32 v7, s11
	s_sleep 1
	global_store_dwordx2 v[10:11], v[8:9], off
	s_waitcnt_vscnt null, 0x0
	global_atomic_cmpswap_x2 v[6:7], v3, v[6:9], s[6:7] offset:32 glc
	s_waitcnt vmcnt(0)
	v_cmp_eq_u64_e32 vcc_lo, v[6:7], v[8:9]
	v_mov_b32_e32 v9, v7
	v_mov_b32_e32 v8, v6
	s_or_b32 s13, vcc_lo, s13
	s_andn2_b32 exec_lo, exec_lo, s13
	s_cbranch_execnz .LBB9_11
.LBB9_12:
	s_or_b32 exec_lo, exec_lo, s12
	v_mov_b32_e32 v9, 0
	s_mov_b32 s13, exec_lo
	s_mov_b32 s12, exec_lo
	v_mbcnt_lo_u32_b32 v3, s13, 0
	global_load_dwordx2 v[6:7], v9, s[6:7] offset:16
	v_cmpx_eq_u32_e32 0, v3
	s_cbranch_execz .LBB9_14
; %bb.13:
	s_bcnt1_i32_b32 s13, s13
	v_mov_b32_e32 v8, s13
	s_waitcnt vmcnt(0)
	global_atomic_add_x2 v[6:7], v[8:9], off offset:8
.LBB9_14:
	s_or_b32 exec_lo, exec_lo, s12
	s_waitcnt vmcnt(0)
	global_load_dwordx2 v[8:9], v[6:7], off offset:16
	s_waitcnt vmcnt(0)
	v_cmp_eq_u64_e32 vcc_lo, 0, v[8:9]
	s_cbranch_vccnz .LBB9_16
; %bb.15:
	global_load_dword v6, v[6:7], off offset:24
	v_mov_b32_e32 v7, 0
	s_waitcnt vmcnt(0)
	v_readfirstlane_b32 s12, v6
	s_waitcnt_vscnt null, 0x0
	global_store_dwordx2 v[8:9], v[6:7], off
	s_and_b32 m0, s12, 0x7fffff
	s_sendmsg sendmsg(MSG_INTERRUPT)
.LBB9_16:
	s_or_b32 exec_lo, exec_lo, s5
	s_branch .LBB9_20
	.p2align	6
.LBB9_17:                               ;   in Loop: Header=BB9_20 Depth=1
	s_or_b32 exec_lo, exec_lo, s5
	v_readfirstlane_b32 s5, v3
	s_cmp_eq_u32 s5, 0
	s_cbranch_scc1 .LBB9_19
; %bb.18:                               ;   in Loop: Header=BB9_20 Depth=1
	s_sleep 1
	s_cbranch_execnz .LBB9_20
	s_branch .LBB9_22
	.p2align	6
.LBB9_19:
	s_branch .LBB9_22
.LBB9_20:                               ; =>This Inner Loop Header: Depth=1
	v_mov_b32_e32 v3, 1
	s_and_saveexec_b32 s5, s4
	s_cbranch_execz .LBB9_17
; %bb.21:                               ;   in Loop: Header=BB9_20 Depth=1
	global_load_dword v3, v[1:2], off offset:20 glc dlc
	s_waitcnt vmcnt(0)
	buffer_gl1_inv
	buffer_gl0_inv
	v_and_b32_e32 v3, 1, v3
	s_branch .LBB9_17
.LBB9_22:
	global_load_dwordx2 v[10:11], v[12:13], off
	s_and_saveexec_b32 s12, s4
	s_cbranch_execz .LBB9_26
; %bb.23:
	v_mov_b32_e32 v3, 0
	s_clause 0x2
	global_load_dwordx2 v[1:2], v3, s[6:7] offset:40
	global_load_dwordx2 v[14:15], v3, s[6:7] offset:24 glc dlc
	global_load_dwordx2 v[6:7], v3, s[6:7]
	s_waitcnt vmcnt(2)
	v_readfirstlane_b32 s14, v1
	v_readfirstlane_b32 s15, v2
	s_add_u32 s13, s14, 1
	s_addc_u32 s16, s15, 0
	s_add_u32 s4, s13, s10
	s_addc_u32 s5, s16, s11
	s_cmp_eq_u64 s[4:5], 0
	s_cselect_b32 s5, s16, s5
	s_cselect_b32 s4, s13, s4
	v_mov_b32_e32 v13, s5
	s_and_b64 s[10:11], s[4:5], s[14:15]
	v_mov_b32_e32 v12, s4
	s_mul_i32 s11, s11, 24
	s_mul_hi_u32 s13, s10, 24
	s_mul_i32 s10, s10, 24
	s_add_i32 s13, s13, s11
	s_waitcnt vmcnt(0)
	v_add_co_u32 v1, vcc_lo, v6, s10
	v_add_co_ci_u32_e64 v2, null, s13, v7, vcc_lo
	global_store_dwordx2 v[1:2], v[14:15], off
	s_waitcnt_vscnt null, 0x0
	global_atomic_cmpswap_x2 v[8:9], v3, v[12:15], s[6:7] offset:24 glc
	s_waitcnt vmcnt(0)
	v_cmp_ne_u64_e32 vcc_lo, v[8:9], v[14:15]
	s_and_b32 exec_lo, exec_lo, vcc_lo
	s_cbranch_execz .LBB9_26
; %bb.24:
	s_mov_b32 s10, 0
.LBB9_25:                               ; =>This Inner Loop Header: Depth=1
	v_mov_b32_e32 v6, s4
	v_mov_b32_e32 v7, s5
	s_sleep 1
	global_store_dwordx2 v[1:2], v[8:9], off
	s_waitcnt_vscnt null, 0x0
	global_atomic_cmpswap_x2 v[6:7], v3, v[6:9], s[6:7] offset:24 glc
	s_waitcnt vmcnt(0)
	v_cmp_eq_u64_e32 vcc_lo, v[6:7], v[8:9]
	v_mov_b32_e32 v9, v7
	v_mov_b32_e32 v8, v6
	s_or_b32 s10, vcc_lo, s10
	s_andn2_b32 exec_lo, exec_lo, s10
	s_cbranch_execnz .LBB9_25
.LBB9_26:
	s_or_b32 exec_lo, exec_lo, s12
	s_lshr_b32 s5, s33, 5
	s_mov_b32 s4, 0
.LBB9_27:                               ; =>This Inner Loop Header: Depth=1
	v_mov_b32_e32 v1, s5
	s_add_i32 s5, s5, 1
	buffer_load_ubyte v1, v1, s[0:3], 0 offen
	s_waitcnt vmcnt(0)
	v_cmp_eq_u16_e32 vcc_lo, 0, v1
	v_mov_b32_e32 v1, s5
	s_or_b32 s4, vcc_lo, s4
	s_andn2_b32 exec_lo, exec_lo, s4
	s_cbranch_execnz .LBB9_27
; %bb.28:
	s_or_b32 exec_lo, exec_lo, s4
	s_lshr_b32 s4, s33, 5
	s_cmp_lg_u32 s4, -1
	s_cbranch_scc0 .LBB9_113
; %bb.29:
	v_lshrrev_b32_e64 v2, 5, s33
	v_and_b32_e32 v3, 2, v10
	v_mov_b32_e32 v13, 0
	v_and_b32_e32 v6, -3, v10
	v_mov_b32_e32 v7, v11
	v_subrev_nc_u32_e32 v1, v2, v1
	v_lshrrev_b32_e64 v36, 5, s33
	v_mov_b32_e32 v14, 2
	v_mov_b32_e32 v15, 1
	s_mov_b32 s15, 0
	v_ashrrev_i32_e32 v2, 31, v1
	s_mov_b32 s14, 0
	s_branch .LBB9_31
.LBB9_30:                               ;   in Loop: Header=BB9_31 Depth=1
	s_or_b32 exec_lo, exec_lo, s12
	v_sub_co_u32 v1, vcc_lo, v1, v37
	v_sub_co_ci_u32_e64 v2, null, v2, v30, vcc_lo
	v_add_nc_u32_e32 v36, v36, v37
	v_cmp_eq_u64_e32 vcc_lo, 0, v[1:2]
	s_or_b32 s14, vcc_lo, s14
	s_andn2_b32 exec_lo, exec_lo, s14
	s_cbranch_execz .LBB9_114
.LBB9_31:                               ; =>This Loop Header: Depth=1
                                        ;     Child Loop BB9_34 Depth 2
                                        ;     Child Loop BB9_42 Depth 2
	;; [unrolled: 1-line block ×11, first 2 shown]
	v_cmp_gt_u64_e32 vcc_lo, 56, v[1:2]
	v_add_nc_u32_e32 v18, 8, v36
	s_mov_b32 s5, exec_lo
	v_cndmask_b32_e32 v37, 56, v1, vcc_lo
	v_cmpx_gt_u64_e32 8, v[1:2]
	s_xor_b32 s5, exec_lo, s5
	s_cbranch_execz .LBB9_37
; %bb.32:                               ;   in Loop: Header=BB9_31 Depth=1
	v_mov_b32_e32 v8, 0
	v_mov_b32_e32 v9, 0
	s_mov_b32 s12, exec_lo
	v_cmpx_ne_u64_e32 0, v[1:2]
	s_cbranch_execz .LBB9_36
; %bb.33:                               ;   in Loop: Header=BB9_31 Depth=1
	v_mov_b32_e32 v8, 0
	v_mov_b32_e32 v9, 0
	s_mov_b64 s[10:11], 0
	s_mov_b32 s13, 0
	s_mov_b32 s16, 0
	.p2align	6
.LBB9_34:                               ;   Parent Loop BB9_31 Depth=1
                                        ; =>  This Inner Loop Header: Depth=2
	v_add_nc_u32_e32 v12, s16, v36
	v_mov_b32_e32 v17, s15
	s_add_i32 s16, s16, 1
	v_cmp_eq_u32_e64 s4, s16, v37
	buffer_load_ubyte v12, v12, s[0:3], 0 offen
	s_waitcnt vmcnt(0)
	v_and_b32_e32 v16, 0xffff, v12
	v_lshlrev_b64 v[16:17], s10, v[16:17]
	s_add_u32 s10, s10, 8
	s_addc_u32 s11, s11, 0
	s_or_b32 s13, s4, s13
	v_or_b32_e32 v9, v17, v9
	v_or_b32_e32 v8, v16, v8
	s_andn2_b32 exec_lo, exec_lo, s13
	s_cbranch_execnz .LBB9_34
; %bb.35:                               ;   in Loop: Header=BB9_31 Depth=1
	s_or_b32 exec_lo, exec_lo, s13
.LBB9_36:                               ;   in Loop: Header=BB9_31 Depth=1
	s_or_b32 exec_lo, exec_lo, s12
	v_mov_b32_e32 v18, v36
.LBB9_37:                               ;   in Loop: Header=BB9_31 Depth=1
	s_or_saveexec_b32 s4, s5
	v_mov_b32_e32 v19, 0
	s_xor_b32 exec_lo, exec_lo, s4
	s_cbranch_execz .LBB9_39
; %bb.38:                               ;   in Loop: Header=BB9_31 Depth=1
	s_clause 0x1
	buffer_load_dword v8, v36, s[0:3], 0 offen
	buffer_load_dword v9, v36, s[0:3], 0 offen offset:4
	v_add_nc_u32_e32 v19, -8, v37
.LBB9_39:                               ;   in Loop: Header=BB9_31 Depth=1
	s_or_b32 exec_lo, exec_lo, s4
	v_add_nc_u32_e32 v12, 8, v18
	s_mov_b32 s5, exec_lo
                                        ; implicit-def: $vgpr16_vgpr17
	v_cmpx_gt_u32_e32 8, v19
	s_xor_b32 s5, exec_lo, s5
	s_cbranch_execz .LBB9_45
; %bb.40:                               ;   in Loop: Header=BB9_31 Depth=1
	v_mov_b32_e32 v16, 0
	v_mov_b32_e32 v17, 0
	s_mov_b32 s12, exec_lo
	v_cmpx_ne_u32_e32 0, v19
	s_cbranch_execz .LBB9_44
; %bb.41:                               ;   in Loop: Header=BB9_31 Depth=1
	v_mov_b32_e32 v16, 0
	v_mov_b32_e32 v17, 0
	s_mov_b64 s[10:11], 0
	s_mov_b32 s13, 0
	s_mov_b32 s16, 0
	.p2align	6
.LBB9_42:                               ;   Parent Loop BB9_31 Depth=1
                                        ; =>  This Inner Loop Header: Depth=2
	v_add_nc_u32_e32 v12, s16, v18
	v_mov_b32_e32 v21, s15
	s_add_i32 s16, s16, 1
	v_cmp_eq_u32_e64 s4, s16, v19
	buffer_load_ubyte v12, v12, s[0:3], 0 offen
	s_waitcnt vmcnt(0)
	v_and_b32_e32 v20, 0xffff, v12
	v_lshlrev_b64 v[20:21], s10, v[20:21]
	s_add_u32 s10, s10, 8
	s_addc_u32 s11, s11, 0
	s_or_b32 s13, s4, s13
	v_or_b32_e32 v17, v21, v17
	v_or_b32_e32 v16, v20, v16
	s_andn2_b32 exec_lo, exec_lo, s13
	s_cbranch_execnz .LBB9_42
; %bb.43:                               ;   in Loop: Header=BB9_31 Depth=1
	s_or_b32 exec_lo, exec_lo, s13
.LBB9_44:                               ;   in Loop: Header=BB9_31 Depth=1
	s_or_b32 exec_lo, exec_lo, s12
	v_mov_b32_e32 v12, v18
                                        ; implicit-def: $vgpr19
.LBB9_45:                               ;   in Loop: Header=BB9_31 Depth=1
	s_or_saveexec_b32 s4, s5
	v_mov_b32_e32 v20, 0
	s_xor_b32 exec_lo, exec_lo, s4
	s_cbranch_execz .LBB9_47
; %bb.46:                               ;   in Loop: Header=BB9_31 Depth=1
	s_clause 0x1
	buffer_load_dword v16, v18, s[0:3], 0 offen
	buffer_load_dword v17, v18, s[0:3], 0 offen offset:4
	v_add_nc_u32_e32 v20, -8, v19
.LBB9_47:                               ;   in Loop: Header=BB9_31 Depth=1
	s_or_b32 exec_lo, exec_lo, s4
	v_add_nc_u32_e32 v22, 8, v12
	s_mov_b32 s5, exec_lo
	v_cmpx_gt_u32_e32 8, v20
	s_xor_b32 s5, exec_lo, s5
	s_cbranch_execz .LBB9_53
; %bb.48:                               ;   in Loop: Header=BB9_31 Depth=1
	v_mov_b32_e32 v18, 0
	v_mov_b32_e32 v19, 0
	s_mov_b32 s12, exec_lo
	v_cmpx_ne_u32_e32 0, v20
	s_cbranch_execz .LBB9_52
; %bb.49:                               ;   in Loop: Header=BB9_31 Depth=1
	v_mov_b32_e32 v18, 0
	v_mov_b32_e32 v19, 0
	s_mov_b64 s[10:11], 0
	s_mov_b32 s13, 0
	s_mov_b32 s16, 0
	.p2align	6
.LBB9_50:                               ;   Parent Loop BB9_31 Depth=1
                                        ; =>  This Inner Loop Header: Depth=2
	v_add_nc_u32_e32 v21, s16, v12
	v_mov_b32_e32 v22, s15
	s_add_i32 s16, s16, 1
	v_cmp_eq_u32_e64 s4, s16, v20
	buffer_load_ubyte v21, v21, s[0:3], 0 offen
	s_waitcnt vmcnt(0)
	v_and_b32_e32 v21, 0xffff, v21
	v_lshlrev_b64 v[21:22], s10, v[21:22]
	s_add_u32 s10, s10, 8
	s_addc_u32 s11, s11, 0
	s_or_b32 s13, s4, s13
	v_or_b32_e32 v19, v22, v19
	v_or_b32_e32 v18, v21, v18
	s_andn2_b32 exec_lo, exec_lo, s13
	s_cbranch_execnz .LBB9_50
; %bb.51:                               ;   in Loop: Header=BB9_31 Depth=1
	s_or_b32 exec_lo, exec_lo, s13
.LBB9_52:                               ;   in Loop: Header=BB9_31 Depth=1
	s_or_b32 exec_lo, exec_lo, s12
	v_mov_b32_e32 v22, v12
                                        ; implicit-def: $vgpr20
.LBB9_53:                               ;   in Loop: Header=BB9_31 Depth=1
	s_or_saveexec_b32 s4, s5
	v_mov_b32_e32 v23, 0
	s_xor_b32 exec_lo, exec_lo, s4
	s_cbranch_execz .LBB9_55
; %bb.54:                               ;   in Loop: Header=BB9_31 Depth=1
	s_clause 0x1
	buffer_load_dword v18, v12, s[0:3], 0 offen
	buffer_load_dword v19, v12, s[0:3], 0 offen offset:4
	v_add_nc_u32_e32 v23, -8, v20
.LBB9_55:                               ;   in Loop: Header=BB9_31 Depth=1
	s_or_b32 exec_lo, exec_lo, s4
	v_add_nc_u32_e32 v12, 8, v22
	s_mov_b32 s5, exec_lo
                                        ; implicit-def: $vgpr20_vgpr21
	v_cmpx_gt_u32_e32 8, v23
	s_xor_b32 s5, exec_lo, s5
	s_cbranch_execz .LBB9_61
; %bb.56:                               ;   in Loop: Header=BB9_31 Depth=1
	v_mov_b32_e32 v20, 0
	v_mov_b32_e32 v21, 0
	s_mov_b32 s12, exec_lo
	v_cmpx_ne_u32_e32 0, v23
	s_cbranch_execz .LBB9_60
; %bb.57:                               ;   in Loop: Header=BB9_31 Depth=1
	v_mov_b32_e32 v20, 0
	v_mov_b32_e32 v21, 0
	s_mov_b64 s[10:11], 0
	s_mov_b32 s13, 0
	s_mov_b32 s16, 0
	.p2align	6
.LBB9_58:                               ;   Parent Loop BB9_31 Depth=1
                                        ; =>  This Inner Loop Header: Depth=2
	v_add_nc_u32_e32 v12, s16, v22
	v_mov_b32_e32 v25, s15
	s_add_i32 s16, s16, 1
	v_cmp_eq_u32_e64 s4, s16, v23
	buffer_load_ubyte v12, v12, s[0:3], 0 offen
	s_waitcnt vmcnt(0)
	v_and_b32_e32 v24, 0xffff, v12
	v_lshlrev_b64 v[24:25], s10, v[24:25]
	s_add_u32 s10, s10, 8
	s_addc_u32 s11, s11, 0
	s_or_b32 s13, s4, s13
	v_or_b32_e32 v21, v25, v21
	v_or_b32_e32 v20, v24, v20
	s_andn2_b32 exec_lo, exec_lo, s13
	s_cbranch_execnz .LBB9_58
; %bb.59:                               ;   in Loop: Header=BB9_31 Depth=1
	s_or_b32 exec_lo, exec_lo, s13
.LBB9_60:                               ;   in Loop: Header=BB9_31 Depth=1
	s_or_b32 exec_lo, exec_lo, s12
	v_mov_b32_e32 v12, v22
                                        ; implicit-def: $vgpr23
.LBB9_61:                               ;   in Loop: Header=BB9_31 Depth=1
	s_or_saveexec_b32 s4, s5
	v_mov_b32_e32 v24, 0
	s_xor_b32 exec_lo, exec_lo, s4
	s_cbranch_execz .LBB9_63
; %bb.62:                               ;   in Loop: Header=BB9_31 Depth=1
	s_clause 0x1
	buffer_load_dword v20, v22, s[0:3], 0 offen
	buffer_load_dword v21, v22, s[0:3], 0 offen offset:4
	v_add_nc_u32_e32 v24, -8, v23
.LBB9_63:                               ;   in Loop: Header=BB9_31 Depth=1
	s_or_b32 exec_lo, exec_lo, s4
	v_add_nc_u32_e32 v26, 8, v12
	s_mov_b32 s5, exec_lo
	v_cmpx_gt_u32_e32 8, v24
	s_xor_b32 s5, exec_lo, s5
	s_cbranch_execz .LBB9_69
; %bb.64:                               ;   in Loop: Header=BB9_31 Depth=1
	v_mov_b32_e32 v22, 0
	v_mov_b32_e32 v23, 0
	s_mov_b32 s12, exec_lo
	v_cmpx_ne_u32_e32 0, v24
	s_cbranch_execz .LBB9_68
; %bb.65:                               ;   in Loop: Header=BB9_31 Depth=1
	v_mov_b32_e32 v22, 0
	v_mov_b32_e32 v23, 0
	s_mov_b64 s[10:11], 0
	s_mov_b32 s13, 0
	s_mov_b32 s16, 0
	.p2align	6
.LBB9_66:                               ;   Parent Loop BB9_31 Depth=1
                                        ; =>  This Inner Loop Header: Depth=2
	v_add_nc_u32_e32 v25, s16, v12
	v_mov_b32_e32 v26, s15
	s_add_i32 s16, s16, 1
	v_cmp_eq_u32_e64 s4, s16, v24
	buffer_load_ubyte v25, v25, s[0:3], 0 offen
	s_waitcnt vmcnt(0)
	v_and_b32_e32 v25, 0xffff, v25
	v_lshlrev_b64 v[25:26], s10, v[25:26]
	s_add_u32 s10, s10, 8
	s_addc_u32 s11, s11, 0
	s_or_b32 s13, s4, s13
	v_or_b32_e32 v23, v26, v23
	v_or_b32_e32 v22, v25, v22
	s_andn2_b32 exec_lo, exec_lo, s13
	s_cbranch_execnz .LBB9_66
; %bb.67:                               ;   in Loop: Header=BB9_31 Depth=1
	s_or_b32 exec_lo, exec_lo, s13
.LBB9_68:                               ;   in Loop: Header=BB9_31 Depth=1
	s_or_b32 exec_lo, exec_lo, s12
	v_mov_b32_e32 v26, v12
                                        ; implicit-def: $vgpr24
.LBB9_69:                               ;   in Loop: Header=BB9_31 Depth=1
	s_or_saveexec_b32 s4, s5
	v_mov_b32_e32 v27, 0
	s_xor_b32 exec_lo, exec_lo, s4
	s_cbranch_execz .LBB9_71
; %bb.70:                               ;   in Loop: Header=BB9_31 Depth=1
	s_clause 0x1
	buffer_load_dword v22, v12, s[0:3], 0 offen
	buffer_load_dword v23, v12, s[0:3], 0 offen offset:4
	v_add_nc_u32_e32 v27, -8, v24
.LBB9_71:                               ;   in Loop: Header=BB9_31 Depth=1
	s_or_b32 exec_lo, exec_lo, s4
	v_add_nc_u32_e32 v12, 8, v26
	s_mov_b32 s5, exec_lo
                                        ; implicit-def: $vgpr24_vgpr25
	v_cmpx_gt_u32_e32 8, v27
	s_xor_b32 s5, exec_lo, s5
	s_cbranch_execz .LBB9_77
; %bb.72:                               ;   in Loop: Header=BB9_31 Depth=1
	v_mov_b32_e32 v24, 0
	v_mov_b32_e32 v25, 0
	s_mov_b32 s12, exec_lo
	v_cmpx_ne_u32_e32 0, v27
	s_cbranch_execz .LBB9_76
; %bb.73:                               ;   in Loop: Header=BB9_31 Depth=1
	v_mov_b32_e32 v24, 0
	v_mov_b32_e32 v25, 0
	s_mov_b64 s[10:11], 0
	s_mov_b32 s13, 0
	s_mov_b32 s16, 0
	.p2align	6
.LBB9_74:                               ;   Parent Loop BB9_31 Depth=1
                                        ; =>  This Inner Loop Header: Depth=2
	v_add_nc_u32_e32 v12, s16, v26
	v_mov_b32_e32 v29, s15
	s_add_i32 s16, s16, 1
	v_cmp_eq_u32_e64 s4, s16, v27
	buffer_load_ubyte v12, v12, s[0:3], 0 offen
	s_waitcnt vmcnt(0)
	v_and_b32_e32 v28, 0xffff, v12
	v_lshlrev_b64 v[28:29], s10, v[28:29]
	s_add_u32 s10, s10, 8
	s_addc_u32 s11, s11, 0
	s_or_b32 s13, s4, s13
	v_or_b32_e32 v25, v29, v25
	v_or_b32_e32 v24, v28, v24
	s_andn2_b32 exec_lo, exec_lo, s13
	s_cbranch_execnz .LBB9_74
; %bb.75:                               ;   in Loop: Header=BB9_31 Depth=1
	s_or_b32 exec_lo, exec_lo, s13
.LBB9_76:                               ;   in Loop: Header=BB9_31 Depth=1
	s_or_b32 exec_lo, exec_lo, s12
	v_mov_b32_e32 v12, v26
                                        ; implicit-def: $vgpr27
.LBB9_77:                               ;   in Loop: Header=BB9_31 Depth=1
	s_or_saveexec_b32 s4, s5
	v_mov_b32_e32 v28, 0
	s_xor_b32 exec_lo, exec_lo, s4
	s_cbranch_execz .LBB9_79
; %bb.78:                               ;   in Loop: Header=BB9_31 Depth=1
	s_clause 0x1
	buffer_load_dword v24, v26, s[0:3], 0 offen
	buffer_load_dword v25, v26, s[0:3], 0 offen offset:4
	v_add_nc_u32_e32 v28, -8, v27
.LBB9_79:                               ;   in Loop: Header=BB9_31 Depth=1
	s_or_b32 exec_lo, exec_lo, s4
	s_mov_b32 s5, exec_lo
	v_cmpx_gt_u32_e32 8, v28
	s_xor_b32 s5, exec_lo, s5
	s_cbranch_execz .LBB9_85
; %bb.80:                               ;   in Loop: Header=BB9_31 Depth=1
	v_mov_b32_e32 v26, 0
	v_mov_b32_e32 v27, 0
	s_mov_b32 s12, exec_lo
	v_cmpx_ne_u32_e32 0, v28
	s_cbranch_execz .LBB9_84
; %bb.81:                               ;   in Loop: Header=BB9_31 Depth=1
	v_mov_b32_e32 v26, 0
	v_mov_b32_e32 v27, 0
	s_mov_b64 s[10:11], 0
	s_mov_b32 s13, 0
	.p2align	6
.LBB9_82:                               ;   Parent Loop BB9_31 Depth=1
                                        ; =>  This Inner Loop Header: Depth=2
	buffer_load_ubyte v29, v12, s[0:3], 0 offen
	v_mov_b32_e32 v30, s15
	v_add_nc_u32_e32 v28, -1, v28
	v_add_nc_u32_e32 v12, 1, v12
	v_cmp_eq_u32_e64 s4, 0, v28
	s_waitcnt vmcnt(0)
	v_and_b32_e32 v29, 0xffff, v29
	v_lshlrev_b64 v[29:30], s10, v[29:30]
	s_add_u32 s10, s10, 8
	s_addc_u32 s11, s11, 0
	s_or_b32 s13, s4, s13
	v_or_b32_e32 v27, v30, v27
	v_or_b32_e32 v26, v29, v26
	s_andn2_b32 exec_lo, exec_lo, s13
	s_cbranch_execnz .LBB9_82
; %bb.83:                               ;   in Loop: Header=BB9_31 Depth=1
	s_or_b32 exec_lo, exec_lo, s13
.LBB9_84:                               ;   in Loop: Header=BB9_31 Depth=1
	s_or_b32 exec_lo, exec_lo, s12
                                        ; implicit-def: $vgpr12
.LBB9_85:                               ;   in Loop: Header=BB9_31 Depth=1
	s_andn2_saveexec_b32 s4, s5
	s_cbranch_execz .LBB9_87
; %bb.86:                               ;   in Loop: Header=BB9_31 Depth=1
	s_clause 0x1
	buffer_load_dword v26, v12, s[0:3], 0 offen
	buffer_load_dword v27, v12, s[0:3], 0 offen offset:4
.LBB9_87:                               ;   in Loop: Header=BB9_31 Depth=1
	s_or_b32 exec_lo, exec_lo, s4
	v_readfirstlane_b32 s4, v34
	v_mov_b32_e32 v32, 0
	v_mov_b32_e32 v33, 0
	v_cmp_eq_u32_e64 s4, s4, v34
	s_and_saveexec_b32 s10, s4
	s_cbranch_execz .LBB9_93
; %bb.88:                               ;   in Loop: Header=BB9_31 Depth=1
	global_load_dwordx2 v[30:31], v13, s[6:7] offset:24 glc dlc
	s_waitcnt vmcnt(0)
	buffer_gl1_inv
	buffer_gl0_inv
	s_clause 0x1
	global_load_dwordx2 v[28:29], v13, s[6:7] offset:40
	global_load_dwordx2 v[32:33], v13, s[6:7]
	s_mov_b32 s11, exec_lo
	s_waitcnt vmcnt(1)
	v_and_b32_e32 v12, v29, v31
	v_and_b32_e32 v28, v28, v30
	v_mul_lo_u32 v12, v12, 24
	v_mul_hi_u32 v29, v28, 24
	v_mul_lo_u32 v28, v28, 24
	v_add_nc_u32_e32 v12, v29, v12
	s_waitcnt vmcnt(0)
	v_add_co_u32 v28, s5, v32, v28
	v_add_co_ci_u32_e64 v29, null, v33, v12, s5
	global_load_dwordx2 v[28:29], v[28:29], off glc dlc
	s_waitcnt vmcnt(0)
	global_atomic_cmpswap_x2 v[32:33], v13, v[28:31], s[6:7] offset:24 glc
	s_waitcnt vmcnt(0)
	buffer_gl1_inv
	buffer_gl0_inv
	v_cmpx_ne_u64_e64 v[32:33], v[30:31]
	s_cbranch_execz .LBB9_92
; %bb.89:                               ;   in Loop: Header=BB9_31 Depth=1
	s_mov_b32 s12, 0
	.p2align	6
.LBB9_90:                               ;   Parent Loop BB9_31 Depth=1
                                        ; =>  This Inner Loop Header: Depth=2
	s_sleep 1
	s_clause 0x1
	global_load_dwordx2 v[28:29], v13, s[6:7] offset:40
	global_load_dwordx2 v[38:39], v13, s[6:7]
	v_mov_b32_e32 v30, v32
	v_mov_b32_e32 v31, v33
	s_waitcnt vmcnt(1)
	v_and_b32_e32 v12, v28, v30
	v_and_b32_e32 v28, v29, v31
	s_waitcnt vmcnt(0)
	v_mad_u64_u32 v[32:33], null, v12, 24, v[38:39]
	v_mov_b32_e32 v12, v33
	v_mad_u64_u32 v[28:29], null, v28, 24, v[12:13]
	v_mov_b32_e32 v33, v28
	global_load_dwordx2 v[28:29], v[32:33], off glc dlc
	s_waitcnt vmcnt(0)
	global_atomic_cmpswap_x2 v[32:33], v13, v[28:31], s[6:7] offset:24 glc
	s_waitcnt vmcnt(0)
	buffer_gl1_inv
	buffer_gl0_inv
	v_cmp_eq_u64_e64 s5, v[32:33], v[30:31]
	s_or_b32 s12, s5, s12
	s_andn2_b32 exec_lo, exec_lo, s12
	s_cbranch_execnz .LBB9_90
; %bb.91:                               ;   in Loop: Header=BB9_31 Depth=1
	s_or_b32 exec_lo, exec_lo, s12
.LBB9_92:                               ;   in Loop: Header=BB9_31 Depth=1
	s_or_b32 exec_lo, exec_lo, s11
.LBB9_93:                               ;   in Loop: Header=BB9_31 Depth=1
	s_or_b32 exec_lo, exec_lo, s10
	s_clause 0x1
	global_load_dwordx2 v[38:39], v13, s[6:7] offset:40
	global_load_dwordx4 v[28:31], v13, s[6:7]
	v_readfirstlane_b32 s11, v33
	v_readfirstlane_b32 s10, v32
	s_mov_b32 s16, exec_lo
	s_waitcnt vmcnt(1)
	v_readfirstlane_b32 s12, v38
	v_readfirstlane_b32 s13, v39
	s_and_b64 s[12:13], s[12:13], s[10:11]
	s_mul_i32 s5, s13, 24
	s_mul_hi_u32 s17, s12, 24
	s_mul_i32 s18, s12, 24
	s_add_i32 s17, s17, s5
	s_waitcnt vmcnt(0)
	v_add_co_u32 v32, s5, v28, s18
	v_add_co_ci_u32_e64 v33, null, s17, v29, s5
	s_and_saveexec_b32 s5, s4
	s_cbranch_execz .LBB9_95
; %bb.94:                               ;   in Loop: Header=BB9_31 Depth=1
	v_mov_b32_e32 v12, s16
	global_store_dwordx4 v[32:33], v[12:15], off offset:8
.LBB9_95:                               ;   in Loop: Header=BB9_31 Depth=1
	s_or_b32 exec_lo, exec_lo, s5
	v_cmp_gt_u64_e64 s5, 57, v[1:2]
	v_and_b32_e32 v6, 0xffffff1f, v6
	s_lshl_b64 s[12:13], s[12:13], 12
	v_cndmask_b32_e64 v12, 0, v3, s5
	v_add_co_u32 v38, s5, v30, s12
	v_add_co_ci_u32_e64 v31, null, s13, v31, s5
	v_lshl_add_u32 v30, v37, 2, 28
	v_or_b32_e32 v6, v6, v12
	v_readfirstlane_b32 s12, v38
	v_readfirstlane_b32 s13, v31
	v_and_or_b32 v6, 0x1e0, v30, v6
	v_cndmask_b32_e32 v30, 0, v2, vcc_lo
	global_store_dwordx4 v35, v[16:19], s[12:13] offset:16
	global_store_dwordx4 v35, v[6:9], s[12:13]
	global_store_dwordx4 v35, v[20:23], s[12:13] offset:32
	global_store_dwordx4 v35, v[24:27], s[12:13] offset:48
	s_and_saveexec_b32 s5, s4
	s_cbranch_execz .LBB9_103
; %bb.96:                               ;   in Loop: Header=BB9_31 Depth=1
	s_clause 0x1
	global_load_dwordx2 v[20:21], v13, s[6:7] offset:32 glc dlc
	global_load_dwordx2 v[6:7], v13, s[6:7] offset:40
	v_mov_b32_e32 v18, s10
	v_mov_b32_e32 v19, s11
	s_waitcnt vmcnt(0)
	v_readfirstlane_b32 s12, v6
	v_readfirstlane_b32 s13, v7
	s_and_b64 s[12:13], s[12:13], s[10:11]
	s_mul_i32 s13, s13, 24
	s_mul_hi_u32 s16, s12, 24
	s_mul_i32 s12, s12, 24
	s_add_i32 s16, s16, s13
	v_add_co_u32 v16, vcc_lo, v28, s12
	v_add_co_ci_u32_e64 v17, null, s16, v29, vcc_lo
	s_mov_b32 s12, exec_lo
	global_store_dwordx2 v[16:17], v[20:21], off
	s_waitcnt_vscnt null, 0x0
	global_atomic_cmpswap_x2 v[8:9], v13, v[18:21], s[6:7] offset:32 glc
	s_waitcnt vmcnt(0)
	v_cmpx_ne_u64_e64 v[8:9], v[20:21]
	s_cbranch_execz .LBB9_99
; %bb.97:                               ;   in Loop: Header=BB9_31 Depth=1
	s_mov_b32 s13, 0
.LBB9_98:                               ;   Parent Loop BB9_31 Depth=1
                                        ; =>  This Inner Loop Header: Depth=2
	v_mov_b32_e32 v6, s10
	v_mov_b32_e32 v7, s11
	s_sleep 1
	global_store_dwordx2 v[16:17], v[8:9], off
	s_waitcnt_vscnt null, 0x0
	global_atomic_cmpswap_x2 v[6:7], v13, v[6:9], s[6:7] offset:32 glc
	s_waitcnt vmcnt(0)
	v_cmp_eq_u64_e32 vcc_lo, v[6:7], v[8:9]
	v_mov_b32_e32 v9, v7
	v_mov_b32_e32 v8, v6
	s_or_b32 s13, vcc_lo, s13
	s_andn2_b32 exec_lo, exec_lo, s13
	s_cbranch_execnz .LBB9_98
.LBB9_99:                               ;   in Loop: Header=BB9_31 Depth=1
	s_or_b32 exec_lo, exec_lo, s12
	global_load_dwordx2 v[6:7], v13, s[6:7] offset:16
	s_mov_b32 s13, exec_lo
	s_mov_b32 s12, exec_lo
	v_mbcnt_lo_u32_b32 v8, s13, 0
	v_cmpx_eq_u32_e32 0, v8
	s_cbranch_execz .LBB9_101
; %bb.100:                              ;   in Loop: Header=BB9_31 Depth=1
	s_bcnt1_i32_b32 s13, s13
	v_mov_b32_e32 v12, s13
	s_waitcnt vmcnt(0)
	global_atomic_add_x2 v[6:7], v[12:13], off offset:8
.LBB9_101:                              ;   in Loop: Header=BB9_31 Depth=1
	s_or_b32 exec_lo, exec_lo, s12
	s_waitcnt vmcnt(0)
	global_load_dwordx2 v[8:9], v[6:7], off offset:16
	s_waitcnt vmcnt(0)
	v_cmp_eq_u64_e32 vcc_lo, 0, v[8:9]
	s_cbranch_vccnz .LBB9_103
; %bb.102:                              ;   in Loop: Header=BB9_31 Depth=1
	global_load_dword v12, v[6:7], off offset:24
	s_waitcnt vmcnt(0)
	v_readfirstlane_b32 s12, v12
	s_waitcnt_vscnt null, 0x0
	global_store_dwordx2 v[8:9], v[12:13], off
	s_and_b32 m0, s12, 0x7fffff
	s_sendmsg sendmsg(MSG_INTERRUPT)
.LBB9_103:                              ;   in Loop: Header=BB9_31 Depth=1
	s_or_b32 exec_lo, exec_lo, s5
	v_add_co_u32 v6, vcc_lo, v38, v35
	v_add_co_ci_u32_e64 v7, null, 0, v31, vcc_lo
	s_branch .LBB9_107
	.p2align	6
.LBB9_104:                              ;   in Loop: Header=BB9_107 Depth=2
	s_or_b32 exec_lo, exec_lo, s5
	v_readfirstlane_b32 s5, v8
	s_cmp_eq_u32 s5, 0
	s_cbranch_scc1 .LBB9_106
; %bb.105:                              ;   in Loop: Header=BB9_107 Depth=2
	s_sleep 1
	s_cbranch_execnz .LBB9_107
	s_branch .LBB9_109
	.p2align	6
.LBB9_106:                              ;   in Loop: Header=BB9_31 Depth=1
	s_branch .LBB9_109
.LBB9_107:                              ;   Parent Loop BB9_31 Depth=1
                                        ; =>  This Inner Loop Header: Depth=2
	v_mov_b32_e32 v8, 1
	s_and_saveexec_b32 s5, s4
	s_cbranch_execz .LBB9_104
; %bb.108:                              ;   in Loop: Header=BB9_107 Depth=2
	global_load_dword v8, v[32:33], off offset:20 glc dlc
	s_waitcnt vmcnt(0)
	buffer_gl1_inv
	buffer_gl0_inv
	v_and_b32_e32 v8, 1, v8
	s_branch .LBB9_104
.LBB9_109:                              ;   in Loop: Header=BB9_31 Depth=1
	global_load_dwordx2 v[6:7], v[6:7], off
	s_and_saveexec_b32 s12, s4
	s_cbranch_execz .LBB9_30
; %bb.110:                              ;   in Loop: Header=BB9_31 Depth=1
	s_clause 0x2
	global_load_dwordx2 v[8:9], v13, s[6:7] offset:40
	global_load_dwordx2 v[20:21], v13, s[6:7] offset:24 glc dlc
	global_load_dwordx2 v[16:17], v13, s[6:7]
	s_waitcnt vmcnt(2)
	v_readfirstlane_b32 s16, v8
	v_readfirstlane_b32 s17, v9
	s_add_u32 s13, s16, 1
	s_addc_u32 s18, s17, 0
	s_add_u32 s4, s13, s10
	s_addc_u32 s5, s18, s11
	s_cmp_eq_u64 s[4:5], 0
	s_cselect_b32 s5, s18, s5
	s_cselect_b32 s4, s13, s4
	v_mov_b32_e32 v19, s5
	s_and_b64 s[10:11], s[4:5], s[16:17]
	v_mov_b32_e32 v18, s4
	s_mul_i32 s11, s11, 24
	s_mul_hi_u32 s13, s10, 24
	s_mul_i32 s10, s10, 24
	s_add_i32 s13, s13, s11
	s_waitcnt vmcnt(0)
	v_add_co_u32 v8, vcc_lo, v16, s10
	v_add_co_ci_u32_e64 v9, null, s13, v17, vcc_lo
	global_store_dwordx2 v[8:9], v[20:21], off
	s_waitcnt_vscnt null, 0x0
	global_atomic_cmpswap_x2 v[18:19], v13, v[18:21], s[6:7] offset:24 glc
	s_waitcnt vmcnt(0)
	v_cmp_ne_u64_e32 vcc_lo, v[18:19], v[20:21]
	s_and_b32 exec_lo, exec_lo, vcc_lo
	s_cbranch_execz .LBB9_30
; %bb.111:                              ;   in Loop: Header=BB9_31 Depth=1
	s_mov_b32 s10, 0
.LBB9_112:                              ;   Parent Loop BB9_31 Depth=1
                                        ; =>  This Inner Loop Header: Depth=2
	v_mov_b32_e32 v16, s4
	v_mov_b32_e32 v17, s5
	s_sleep 1
	global_store_dwordx2 v[8:9], v[18:19], off
	s_waitcnt_vscnt null, 0x0
	global_atomic_cmpswap_x2 v[16:17], v13, v[16:19], s[6:7] offset:24 glc
	s_waitcnt vmcnt(0)
	v_cmp_eq_u64_e32 vcc_lo, v[16:17], v[18:19]
	v_mov_b32_e32 v19, v17
	v_mov_b32_e32 v18, v16
	s_or_b32 s10, vcc_lo, s10
	s_andn2_b32 exec_lo, exec_lo, s10
	s_cbranch_execnz .LBB9_112
	s_branch .LBB9_30
.LBB9_113:
                                        ; implicit-def: $vgpr6_vgpr7
	s_cbranch_execnz .LBB9_115
	s_branch .LBB9_142
.LBB9_114:
	s_or_b32 exec_lo, exec_lo, s14
	s_branch .LBB9_142
.LBB9_115:
	v_readfirstlane_b32 s4, v34
	v_mov_b32_e32 v1, 0
	v_mov_b32_e32 v2, 0
	v_cmp_eq_u32_e64 s4, s4, v34
	s_and_saveexec_b32 s5, s4
	s_cbranch_execz .LBB9_121
; %bb.116:
	v_mov_b32_e32 v3, 0
	s_mov_b32 s10, exec_lo
	global_load_dwordx2 v[8:9], v3, s[6:7] offset:24 glc dlc
	s_waitcnt vmcnt(0)
	buffer_gl1_inv
	buffer_gl0_inv
	s_clause 0x1
	global_load_dwordx2 v[1:2], v3, s[6:7] offset:40
	global_load_dwordx2 v[6:7], v3, s[6:7]
	s_waitcnt vmcnt(1)
	v_and_b32_e32 v2, v2, v9
	v_and_b32_e32 v1, v1, v8
	v_mul_lo_u32 v2, v2, 24
	v_mul_hi_u32 v12, v1, 24
	v_mul_lo_u32 v1, v1, 24
	v_add_nc_u32_e32 v2, v12, v2
	s_waitcnt vmcnt(0)
	v_add_co_u32 v1, vcc_lo, v6, v1
	v_add_co_ci_u32_e64 v2, null, v7, v2, vcc_lo
	global_load_dwordx2 v[6:7], v[1:2], off glc dlc
	s_waitcnt vmcnt(0)
	global_atomic_cmpswap_x2 v[1:2], v3, v[6:9], s[6:7] offset:24 glc
	s_waitcnt vmcnt(0)
	buffer_gl1_inv
	buffer_gl0_inv
	v_cmpx_ne_u64_e64 v[1:2], v[8:9]
	s_cbranch_execz .LBB9_120
; %bb.117:
	s_mov_b32 s11, 0
	.p2align	6
.LBB9_118:                              ; =>This Inner Loop Header: Depth=1
	s_sleep 1
	s_clause 0x1
	global_load_dwordx2 v[6:7], v3, s[6:7] offset:40
	global_load_dwordx2 v[12:13], v3, s[6:7]
	v_mov_b32_e32 v9, v2
	v_mov_b32_e32 v8, v1
	s_waitcnt vmcnt(1)
	v_and_b32_e32 v1, v6, v8
	v_and_b32_e32 v6, v7, v9
	s_waitcnt vmcnt(0)
	v_mad_u64_u32 v[1:2], null, v1, 24, v[12:13]
	v_mad_u64_u32 v[6:7], null, v6, 24, v[2:3]
	v_mov_b32_e32 v2, v6
	global_load_dwordx2 v[6:7], v[1:2], off glc dlc
	s_waitcnt vmcnt(0)
	global_atomic_cmpswap_x2 v[1:2], v3, v[6:9], s[6:7] offset:24 glc
	s_waitcnt vmcnt(0)
	buffer_gl1_inv
	buffer_gl0_inv
	v_cmp_eq_u64_e32 vcc_lo, v[1:2], v[8:9]
	s_or_b32 s11, vcc_lo, s11
	s_andn2_b32 exec_lo, exec_lo, s11
	s_cbranch_execnz .LBB9_118
; %bb.119:
	s_or_b32 exec_lo, exec_lo, s11
.LBB9_120:
	s_or_b32 exec_lo, exec_lo, s10
.LBB9_121:
	s_or_b32 exec_lo, exec_lo, s5
	v_mov_b32_e32 v12, 0
	v_readfirstlane_b32 s11, v2
	v_readfirstlane_b32 s10, v1
	s_mov_b32 s5, exec_lo
	s_clause 0x1
	global_load_dwordx2 v[13:14], v12, s[6:7] offset:40
	global_load_dwordx4 v[6:9], v12, s[6:7]
	s_waitcnt vmcnt(1)
	v_readfirstlane_b32 s12, v13
	v_readfirstlane_b32 s13, v14
	s_and_b64 s[12:13], s[12:13], s[10:11]
	s_mul_i32 s14, s13, 24
	s_mul_hi_u32 s15, s12, 24
	s_mul_i32 s16, s12, 24
	s_add_i32 s15, s15, s14
	s_waitcnt vmcnt(0)
	v_add_co_u32 v1, vcc_lo, v6, s16
	v_add_co_ci_u32_e64 v2, null, s15, v7, vcc_lo
	s_and_saveexec_b32 s14, s4
	s_cbranch_execz .LBB9_123
; %bb.122:
	v_mov_b32_e32 v13, s5
	v_mov_b32_e32 v14, v12
	;; [unrolled: 1-line block ×4, first 2 shown]
	global_store_dwordx4 v[1:2], v[13:16], off offset:8
.LBB9_123:
	s_or_b32 exec_lo, exec_lo, s14
	s_lshl_b64 s[12:13], s[12:13], 12
	v_and_or_b32 v10, 0xffffff1f, v10, 32
	v_add_co_u32 v3, vcc_lo, v8, s12
	v_add_co_ci_u32_e64 v8, null, s13, v9, vcc_lo
	s_mov_b32 s12, 0
	v_add_co_u32 v14, vcc_lo, v3, v35
	s_mov_b32 s15, s12
	s_mov_b32 s13, s12
	;; [unrolled: 1-line block ×3, first 2 shown]
	v_mov_b32_e32 v13, v12
	v_readfirstlane_b32 s16, v3
	v_readfirstlane_b32 s17, v8
	v_mov_b32_e32 v19, s15
	v_add_co_ci_u32_e64 v15, null, 0, v8, vcc_lo
	v_mov_b32_e32 v18, s14
	v_mov_b32_e32 v17, s13
	;; [unrolled: 1-line block ×3, first 2 shown]
	global_store_dwordx4 v35, v[10:13], s[16:17]
	global_store_dwordx4 v35, v[16:19], s[16:17] offset:16
	global_store_dwordx4 v35, v[16:19], s[16:17] offset:32
	;; [unrolled: 1-line block ×3, first 2 shown]
	s_and_saveexec_b32 s5, s4
	s_cbranch_execz .LBB9_131
; %bb.124:
	v_mov_b32_e32 v3, 0
	v_mov_b32_e32 v16, s10
	;; [unrolled: 1-line block ×3, first 2 shown]
	s_clause 0x1
	global_load_dwordx2 v[18:19], v3, s[6:7] offset:32 glc dlc
	global_load_dwordx2 v[8:9], v3, s[6:7] offset:40
	s_waitcnt vmcnt(0)
	v_readfirstlane_b32 s12, v8
	v_readfirstlane_b32 s13, v9
	s_and_b64 s[12:13], s[12:13], s[10:11]
	s_mul_i32 s13, s13, 24
	s_mul_hi_u32 s14, s12, 24
	s_mul_i32 s12, s12, 24
	s_add_i32 s14, s14, s13
	v_add_co_u32 v10, vcc_lo, v6, s12
	v_add_co_ci_u32_e64 v11, null, s14, v7, vcc_lo
	s_mov_b32 s12, exec_lo
	global_store_dwordx2 v[10:11], v[18:19], off
	s_waitcnt_vscnt null, 0x0
	global_atomic_cmpswap_x2 v[8:9], v3, v[16:19], s[6:7] offset:32 glc
	s_waitcnt vmcnt(0)
	v_cmpx_ne_u64_e64 v[8:9], v[18:19]
	s_cbranch_execz .LBB9_127
; %bb.125:
	s_mov_b32 s13, 0
.LBB9_126:                              ; =>This Inner Loop Header: Depth=1
	v_mov_b32_e32 v6, s10
	v_mov_b32_e32 v7, s11
	s_sleep 1
	global_store_dwordx2 v[10:11], v[8:9], off
	s_waitcnt_vscnt null, 0x0
	global_atomic_cmpswap_x2 v[6:7], v3, v[6:9], s[6:7] offset:32 glc
	s_waitcnt vmcnt(0)
	v_cmp_eq_u64_e32 vcc_lo, v[6:7], v[8:9]
	v_mov_b32_e32 v9, v7
	v_mov_b32_e32 v8, v6
	s_or_b32 s13, vcc_lo, s13
	s_andn2_b32 exec_lo, exec_lo, s13
	s_cbranch_execnz .LBB9_126
.LBB9_127:
	s_or_b32 exec_lo, exec_lo, s12
	v_mov_b32_e32 v9, 0
	s_mov_b32 s13, exec_lo
	s_mov_b32 s12, exec_lo
	v_mbcnt_lo_u32_b32 v3, s13, 0
	global_load_dwordx2 v[6:7], v9, s[6:7] offset:16
	v_cmpx_eq_u32_e32 0, v3
	s_cbranch_execz .LBB9_129
; %bb.128:
	s_bcnt1_i32_b32 s13, s13
	v_mov_b32_e32 v8, s13
	s_waitcnt vmcnt(0)
	global_atomic_add_x2 v[6:7], v[8:9], off offset:8
.LBB9_129:
	s_or_b32 exec_lo, exec_lo, s12
	s_waitcnt vmcnt(0)
	global_load_dwordx2 v[8:9], v[6:7], off offset:16
	s_waitcnt vmcnt(0)
	v_cmp_eq_u64_e32 vcc_lo, 0, v[8:9]
	s_cbranch_vccnz .LBB9_131
; %bb.130:
	global_load_dword v6, v[6:7], off offset:24
	v_mov_b32_e32 v7, 0
	s_waitcnt vmcnt(0)
	v_readfirstlane_b32 s12, v6
	s_waitcnt_vscnt null, 0x0
	global_store_dwordx2 v[8:9], v[6:7], off
	s_and_b32 m0, s12, 0x7fffff
	s_sendmsg sendmsg(MSG_INTERRUPT)
.LBB9_131:
	s_or_b32 exec_lo, exec_lo, s5
	s_branch .LBB9_135
	.p2align	6
.LBB9_132:                              ;   in Loop: Header=BB9_135 Depth=1
	s_or_b32 exec_lo, exec_lo, s5
	v_readfirstlane_b32 s5, v3
	s_cmp_eq_u32 s5, 0
	s_cbranch_scc1 .LBB9_134
; %bb.133:                              ;   in Loop: Header=BB9_135 Depth=1
	s_sleep 1
	s_cbranch_execnz .LBB9_135
	s_branch .LBB9_137
	.p2align	6
.LBB9_134:
	s_branch .LBB9_137
.LBB9_135:                              ; =>This Inner Loop Header: Depth=1
	v_mov_b32_e32 v3, 1
	s_and_saveexec_b32 s5, s4
	s_cbranch_execz .LBB9_132
; %bb.136:                              ;   in Loop: Header=BB9_135 Depth=1
	global_load_dword v3, v[1:2], off offset:20 glc dlc
	s_waitcnt vmcnt(0)
	buffer_gl1_inv
	buffer_gl0_inv
	v_and_b32_e32 v3, 1, v3
	s_branch .LBB9_132
.LBB9_137:
	global_load_dwordx2 v[6:7], v[14:15], off
	s_and_saveexec_b32 s12, s4
	s_cbranch_execz .LBB9_141
; %bb.138:
	v_mov_b32_e32 v3, 0
	s_clause 0x2
	global_load_dwordx2 v[1:2], v3, s[6:7] offset:40
	global_load_dwordx2 v[12:13], v3, s[6:7] offset:24 glc dlc
	global_load_dwordx2 v[8:9], v3, s[6:7]
	s_waitcnt vmcnt(2)
	v_readfirstlane_b32 s14, v1
	v_readfirstlane_b32 s15, v2
	s_add_u32 s13, s14, 1
	s_addc_u32 s16, s15, 0
	s_add_u32 s4, s13, s10
	s_addc_u32 s5, s16, s11
	s_cmp_eq_u64 s[4:5], 0
	s_cselect_b32 s5, s16, s5
	s_cselect_b32 s4, s13, s4
	v_mov_b32_e32 v11, s5
	s_and_b64 s[10:11], s[4:5], s[14:15]
	v_mov_b32_e32 v10, s4
	s_mul_i32 s11, s11, 24
	s_mul_hi_u32 s13, s10, 24
	s_mul_i32 s10, s10, 24
	s_add_i32 s13, s13, s11
	s_waitcnt vmcnt(0)
	v_add_co_u32 v1, vcc_lo, v8, s10
	v_add_co_ci_u32_e64 v2, null, s13, v9, vcc_lo
	global_store_dwordx2 v[1:2], v[12:13], off
	s_waitcnt_vscnt null, 0x0
	global_atomic_cmpswap_x2 v[10:11], v3, v[10:13], s[6:7] offset:24 glc
	s_waitcnt vmcnt(0)
	v_cmp_ne_u64_e32 vcc_lo, v[10:11], v[12:13]
	s_and_b32 exec_lo, exec_lo, vcc_lo
	s_cbranch_execz .LBB9_141
; %bb.139:
	s_mov_b32 s10, 0
.LBB9_140:                              ; =>This Inner Loop Header: Depth=1
	v_mov_b32_e32 v8, s4
	v_mov_b32_e32 v9, s5
	s_sleep 1
	global_store_dwordx2 v[1:2], v[10:11], off
	s_waitcnt_vscnt null, 0x0
	global_atomic_cmpswap_x2 v[8:9], v3, v[8:11], s[6:7] offset:24 glc
	s_waitcnt vmcnt(0)
	v_cmp_eq_u64_e32 vcc_lo, v[8:9], v[10:11]
	v_mov_b32_e32 v11, v9
	v_mov_b32_e32 v10, v8
	s_or_b32 s10, vcc_lo, s10
	s_andn2_b32 exec_lo, exec_lo, s10
	s_cbranch_execnz .LBB9_140
.LBB9_141:
	s_or_b32 exec_lo, exec_lo, s12
.LBB9_142:
	s_getpc_b64 s[10:11]
	s_add_u32 s10, s10, .str.4@rel32@lo+4
	s_addc_u32 s11, s11, .str.4@rel32@hi+12
	s_cmp_lg_u64 s[10:11], 0
	s_cbranch_scc0 .LBB9_220
; %bb.143:
	s_getpc_b64 s[4:5]
	s_add_u32 s4, s4, .str.4@rel32@lo+74
	s_addc_u32 s5, s5, .str.4@rel32@hi+82
	s_waitcnt vmcnt(0)
	v_and_b32_e32 v3, 2, v6
	v_mov_b32_e32 v13, 0
	v_and_b32_e32 v8, -3, v6
	v_mov_b32_e32 v9, v7
	v_mov_b32_e32 v14, 2
	v_mov_b32_e32 v15, 1
	s_sub_i32 s12, s4, s10
	s_ashr_i32 s13, s12, 31
	s_branch .LBB9_145
.LBB9_144:                              ;   in Loop: Header=BB9_145 Depth=1
	s_or_b32 exec_lo, exec_lo, s18
	s_sub_u32 s12, s12, s14
	s_subb_u32 s13, s13, s15
	s_add_u32 s10, s10, s14
	s_addc_u32 s11, s11, s15
	s_cmp_lg_u64 s[12:13], 0
	s_cbranch_scc0 .LBB9_221
.LBB9_145:                              ; =>This Loop Header: Depth=1
                                        ;     Child Loop BB9_148 Depth 2
                                        ;     Child Loop BB9_155 Depth 2
	;; [unrolled: 1-line block ×11, first 2 shown]
	v_cmp_lt_u64_e64 s4, s[12:13], 56
	v_cmp_gt_u64_e64 s16, s[12:13], 7
	s_and_b32 s4, s4, exec_lo
	s_cselect_b32 s15, s13, 0
	s_cselect_b32 s14, s12, 56
	s_add_u32 s4, s10, 8
	s_addc_u32 s5, s11, 0
	s_and_b32 vcc_lo, exec_lo, s16
	s_cbranch_vccnz .LBB9_150
; %bb.146:                              ;   in Loop: Header=BB9_145 Depth=1
	v_mov_b32_e32 v10, 0
	v_mov_b32_e32 v11, 0
	s_cmp_eq_u64 s[12:13], 0
	s_cbranch_scc1 .LBB9_149
; %bb.147:                              ;   in Loop: Header=BB9_145 Depth=1
	s_lshl_b64 s[4:5], s[14:15], 3
	s_mov_b64 s[16:17], 0
	s_mov_b64 s[18:19], s[10:11]
.LBB9_148:                              ;   Parent Loop BB9_145 Depth=1
                                        ; =>  This Inner Loop Header: Depth=2
	global_load_ubyte v1, v13, s[18:19]
	s_waitcnt vmcnt(0)
	v_and_b32_e32 v12, 0xffff, v1
	v_lshlrev_b64 v[1:2], s16, v[12:13]
	s_add_u32 s16, s16, 8
	s_addc_u32 s17, s17, 0
	s_add_u32 s18, s18, 1
	s_addc_u32 s19, s19, 0
	s_cmp_lg_u32 s4, s16
	v_or_b32_e32 v10, v1, v10
	v_or_b32_e32 v11, v2, v11
	s_cbranch_scc1 .LBB9_148
.LBB9_149:                              ;   in Loop: Header=BB9_145 Depth=1
	s_mov_b64 s[4:5], s[10:11]
	s_mov_b32 s20, 0
	s_cbranch_execz .LBB9_151
	s_branch .LBB9_152
.LBB9_150:                              ;   in Loop: Header=BB9_145 Depth=1
	s_mov_b32 s20, 0
.LBB9_151:                              ;   in Loop: Header=BB9_145 Depth=1
	global_load_dwordx2 v[10:11], v13, s[10:11]
	s_add_i32 s20, s14, -8
.LBB9_152:                              ;   in Loop: Header=BB9_145 Depth=1
	s_add_u32 s16, s4, 8
	s_addc_u32 s17, s5, 0
	s_cmp_gt_u32 s20, 7
	s_cbranch_scc1 .LBB9_157
; %bb.153:                              ;   in Loop: Header=BB9_145 Depth=1
	v_mov_b32_e32 v16, 0
	v_mov_b32_e32 v17, 0
	s_cmp_eq_u32 s20, 0
	s_cbranch_scc1 .LBB9_156
; %bb.154:                              ;   in Loop: Header=BB9_145 Depth=1
	s_mov_b64 s[16:17], 0
	s_mov_b64 s[18:19], 0
.LBB9_155:                              ;   Parent Loop BB9_145 Depth=1
                                        ; =>  This Inner Loop Header: Depth=2
	s_add_u32 s22, s4, s18
	s_addc_u32 s23, s5, s19
	s_add_u32 s18, s18, 1
	global_load_ubyte v1, v13, s[22:23]
	s_addc_u32 s19, s19, 0
	s_waitcnt vmcnt(0)
	v_and_b32_e32 v12, 0xffff, v1
	v_lshlrev_b64 v[1:2], s16, v[12:13]
	s_add_u32 s16, s16, 8
	s_addc_u32 s17, s17, 0
	s_cmp_lg_u32 s20, s18
	v_or_b32_e32 v16, v1, v16
	v_or_b32_e32 v17, v2, v17
	s_cbranch_scc1 .LBB9_155
.LBB9_156:                              ;   in Loop: Header=BB9_145 Depth=1
	s_mov_b64 s[16:17], s[4:5]
	s_mov_b32 s21, 0
	s_cbranch_execz .LBB9_158
	s_branch .LBB9_159
.LBB9_157:                              ;   in Loop: Header=BB9_145 Depth=1
                                        ; implicit-def: $vgpr16_vgpr17
	s_mov_b32 s21, 0
.LBB9_158:                              ;   in Loop: Header=BB9_145 Depth=1
	global_load_dwordx2 v[16:17], v13, s[4:5]
	s_add_i32 s21, s20, -8
.LBB9_159:                              ;   in Loop: Header=BB9_145 Depth=1
	s_add_u32 s4, s16, 8
	s_addc_u32 s5, s17, 0
	s_cmp_gt_u32 s21, 7
	s_cbranch_scc1 .LBB9_164
; %bb.160:                              ;   in Loop: Header=BB9_145 Depth=1
	v_mov_b32_e32 v18, 0
	v_mov_b32_e32 v19, 0
	s_cmp_eq_u32 s21, 0
	s_cbranch_scc1 .LBB9_163
; %bb.161:                              ;   in Loop: Header=BB9_145 Depth=1
	s_mov_b64 s[4:5], 0
	s_mov_b64 s[18:19], 0
.LBB9_162:                              ;   Parent Loop BB9_145 Depth=1
                                        ; =>  This Inner Loop Header: Depth=2
	s_add_u32 s22, s16, s18
	s_addc_u32 s23, s17, s19
	s_add_u32 s18, s18, 1
	global_load_ubyte v1, v13, s[22:23]
	s_addc_u32 s19, s19, 0
	s_waitcnt vmcnt(0)
	v_and_b32_e32 v12, 0xffff, v1
	v_lshlrev_b64 v[1:2], s4, v[12:13]
	s_add_u32 s4, s4, 8
	s_addc_u32 s5, s5, 0
	s_cmp_lg_u32 s21, s18
	v_or_b32_e32 v18, v1, v18
	v_or_b32_e32 v19, v2, v19
	s_cbranch_scc1 .LBB9_162
.LBB9_163:                              ;   in Loop: Header=BB9_145 Depth=1
	s_mov_b64 s[4:5], s[16:17]
	s_mov_b32 s20, 0
	s_cbranch_execz .LBB9_165
	s_branch .LBB9_166
.LBB9_164:                              ;   in Loop: Header=BB9_145 Depth=1
	s_mov_b32 s20, 0
.LBB9_165:                              ;   in Loop: Header=BB9_145 Depth=1
	global_load_dwordx2 v[18:19], v13, s[16:17]
	s_add_i32 s20, s21, -8
.LBB9_166:                              ;   in Loop: Header=BB9_145 Depth=1
	s_add_u32 s16, s4, 8
	s_addc_u32 s17, s5, 0
	s_cmp_gt_u32 s20, 7
	s_cbranch_scc1 .LBB9_171
; %bb.167:                              ;   in Loop: Header=BB9_145 Depth=1
	v_mov_b32_e32 v20, 0
	v_mov_b32_e32 v21, 0
	s_cmp_eq_u32 s20, 0
	s_cbranch_scc1 .LBB9_170
; %bb.168:                              ;   in Loop: Header=BB9_145 Depth=1
	s_mov_b64 s[16:17], 0
	s_mov_b64 s[18:19], 0
.LBB9_169:                              ;   Parent Loop BB9_145 Depth=1
                                        ; =>  This Inner Loop Header: Depth=2
	s_add_u32 s22, s4, s18
	s_addc_u32 s23, s5, s19
	s_add_u32 s18, s18, 1
	global_load_ubyte v1, v13, s[22:23]
	s_addc_u32 s19, s19, 0
	s_waitcnt vmcnt(0)
	v_and_b32_e32 v12, 0xffff, v1
	v_lshlrev_b64 v[1:2], s16, v[12:13]
	s_add_u32 s16, s16, 8
	s_addc_u32 s17, s17, 0
	s_cmp_lg_u32 s20, s18
	v_or_b32_e32 v20, v1, v20
	v_or_b32_e32 v21, v2, v21
	s_cbranch_scc1 .LBB9_169
.LBB9_170:                              ;   in Loop: Header=BB9_145 Depth=1
	s_mov_b64 s[16:17], s[4:5]
	s_mov_b32 s21, 0
	s_cbranch_execz .LBB9_172
	s_branch .LBB9_173
.LBB9_171:                              ;   in Loop: Header=BB9_145 Depth=1
                                        ; implicit-def: $vgpr20_vgpr21
	s_mov_b32 s21, 0
.LBB9_172:                              ;   in Loop: Header=BB9_145 Depth=1
	global_load_dwordx2 v[20:21], v13, s[4:5]
	s_add_i32 s21, s20, -8
.LBB9_173:                              ;   in Loop: Header=BB9_145 Depth=1
	s_add_u32 s4, s16, 8
	s_addc_u32 s5, s17, 0
	s_cmp_gt_u32 s21, 7
	s_cbranch_scc1 .LBB9_178
; %bb.174:                              ;   in Loop: Header=BB9_145 Depth=1
	v_mov_b32_e32 v22, 0
	v_mov_b32_e32 v23, 0
	s_cmp_eq_u32 s21, 0
	s_cbranch_scc1 .LBB9_177
; %bb.175:                              ;   in Loop: Header=BB9_145 Depth=1
	s_mov_b64 s[4:5], 0
	s_mov_b64 s[18:19], 0
.LBB9_176:                              ;   Parent Loop BB9_145 Depth=1
                                        ; =>  This Inner Loop Header: Depth=2
	s_add_u32 s22, s16, s18
	s_addc_u32 s23, s17, s19
	s_add_u32 s18, s18, 1
	global_load_ubyte v1, v13, s[22:23]
	s_addc_u32 s19, s19, 0
	s_waitcnt vmcnt(0)
	v_and_b32_e32 v12, 0xffff, v1
	v_lshlrev_b64 v[1:2], s4, v[12:13]
	s_add_u32 s4, s4, 8
	s_addc_u32 s5, s5, 0
	s_cmp_lg_u32 s21, s18
	v_or_b32_e32 v22, v1, v22
	v_or_b32_e32 v23, v2, v23
	s_cbranch_scc1 .LBB9_176
.LBB9_177:                              ;   in Loop: Header=BB9_145 Depth=1
	s_mov_b64 s[4:5], s[16:17]
	s_mov_b32 s20, 0
	s_cbranch_execz .LBB9_179
	s_branch .LBB9_180
.LBB9_178:                              ;   in Loop: Header=BB9_145 Depth=1
	s_mov_b32 s20, 0
.LBB9_179:                              ;   in Loop: Header=BB9_145 Depth=1
	global_load_dwordx2 v[22:23], v13, s[16:17]
	s_add_i32 s20, s21, -8
.LBB9_180:                              ;   in Loop: Header=BB9_145 Depth=1
	s_add_u32 s16, s4, 8
	s_addc_u32 s17, s5, 0
	s_cmp_gt_u32 s20, 7
	s_cbranch_scc1 .LBB9_185
; %bb.181:                              ;   in Loop: Header=BB9_145 Depth=1
	v_mov_b32_e32 v24, 0
	v_mov_b32_e32 v25, 0
	s_cmp_eq_u32 s20, 0
	s_cbranch_scc1 .LBB9_184
; %bb.182:                              ;   in Loop: Header=BB9_145 Depth=1
	s_mov_b64 s[16:17], 0
	s_mov_b64 s[18:19], 0
.LBB9_183:                              ;   Parent Loop BB9_145 Depth=1
                                        ; =>  This Inner Loop Header: Depth=2
	s_add_u32 s22, s4, s18
	s_addc_u32 s23, s5, s19
	s_add_u32 s18, s18, 1
	global_load_ubyte v1, v13, s[22:23]
	s_addc_u32 s19, s19, 0
	s_waitcnt vmcnt(0)
	v_and_b32_e32 v12, 0xffff, v1
	v_lshlrev_b64 v[1:2], s16, v[12:13]
	s_add_u32 s16, s16, 8
	s_addc_u32 s17, s17, 0
	s_cmp_lg_u32 s20, s18
	v_or_b32_e32 v24, v1, v24
	v_or_b32_e32 v25, v2, v25
	s_cbranch_scc1 .LBB9_183
.LBB9_184:                              ;   in Loop: Header=BB9_145 Depth=1
	s_mov_b64 s[16:17], s[4:5]
	s_mov_b32 s21, 0
	s_cbranch_execz .LBB9_186
	s_branch .LBB9_187
.LBB9_185:                              ;   in Loop: Header=BB9_145 Depth=1
                                        ; implicit-def: $vgpr24_vgpr25
	s_mov_b32 s21, 0
.LBB9_186:                              ;   in Loop: Header=BB9_145 Depth=1
	global_load_dwordx2 v[24:25], v13, s[4:5]
	s_add_i32 s21, s20, -8
.LBB9_187:                              ;   in Loop: Header=BB9_145 Depth=1
	s_cmp_gt_u32 s21, 7
	s_cbranch_scc1 .LBB9_192
; %bb.188:                              ;   in Loop: Header=BB9_145 Depth=1
	v_mov_b32_e32 v26, 0
	v_mov_b32_e32 v27, 0
	s_cmp_eq_u32 s21, 0
	s_cbranch_scc1 .LBB9_191
; %bb.189:                              ;   in Loop: Header=BB9_145 Depth=1
	s_mov_b64 s[4:5], 0
	s_mov_b64 s[18:19], s[16:17]
.LBB9_190:                              ;   Parent Loop BB9_145 Depth=1
                                        ; =>  This Inner Loop Header: Depth=2
	global_load_ubyte v1, v13, s[18:19]
	s_add_i32 s21, s21, -1
	s_waitcnt vmcnt(0)
	v_and_b32_e32 v12, 0xffff, v1
	v_lshlrev_b64 v[1:2], s4, v[12:13]
	s_add_u32 s4, s4, 8
	s_addc_u32 s5, s5, 0
	s_add_u32 s18, s18, 1
	s_addc_u32 s19, s19, 0
	s_cmp_lg_u32 s21, 0
	v_or_b32_e32 v26, v1, v26
	v_or_b32_e32 v27, v2, v27
	s_cbranch_scc1 .LBB9_190
.LBB9_191:                              ;   in Loop: Header=BB9_145 Depth=1
	s_cbranch_execz .LBB9_193
	s_branch .LBB9_194
.LBB9_192:                              ;   in Loop: Header=BB9_145 Depth=1
.LBB9_193:                              ;   in Loop: Header=BB9_145 Depth=1
	global_load_dwordx2 v[26:27], v13, s[16:17]
.LBB9_194:                              ;   in Loop: Header=BB9_145 Depth=1
	v_readfirstlane_b32 s4, v34
	v_mov_b32_e32 v1, 0
	v_mov_b32_e32 v2, 0
	v_cmp_eq_u32_e64 s4, s4, v34
	s_and_saveexec_b32 s5, s4
	s_cbranch_execz .LBB9_200
; %bb.195:                              ;   in Loop: Header=BB9_145 Depth=1
	global_load_dwordx2 v[30:31], v13, s[6:7] offset:24 glc dlc
	s_waitcnt vmcnt(0)
	buffer_gl1_inv
	buffer_gl0_inv
	s_clause 0x1
	global_load_dwordx2 v[1:2], v13, s[6:7] offset:40
	global_load_dwordx2 v[28:29], v13, s[6:7]
	s_mov_b32 s16, exec_lo
	s_waitcnt vmcnt(1)
	v_and_b32_e32 v2, v2, v31
	v_and_b32_e32 v1, v1, v30
	v_mul_lo_u32 v2, v2, 24
	v_mul_hi_u32 v12, v1, 24
	v_mul_lo_u32 v1, v1, 24
	v_add_nc_u32_e32 v2, v12, v2
	s_waitcnt vmcnt(0)
	v_add_co_u32 v1, vcc_lo, v28, v1
	v_add_co_ci_u32_e64 v2, null, v29, v2, vcc_lo
	global_load_dwordx2 v[28:29], v[1:2], off glc dlc
	s_waitcnt vmcnt(0)
	global_atomic_cmpswap_x2 v[1:2], v13, v[28:31], s[6:7] offset:24 glc
	s_waitcnt vmcnt(0)
	buffer_gl1_inv
	buffer_gl0_inv
	v_cmpx_ne_u64_e64 v[1:2], v[30:31]
	s_cbranch_execz .LBB9_199
; %bb.196:                              ;   in Loop: Header=BB9_145 Depth=1
	s_mov_b32 s17, 0
	.p2align	6
.LBB9_197:                              ;   Parent Loop BB9_145 Depth=1
                                        ; =>  This Inner Loop Header: Depth=2
	s_sleep 1
	s_clause 0x1
	global_load_dwordx2 v[28:29], v13, s[6:7] offset:40
	global_load_dwordx2 v[32:33], v13, s[6:7]
	v_mov_b32_e32 v31, v2
	v_mov_b32_e32 v30, v1
	s_waitcnt vmcnt(1)
	v_and_b32_e32 v1, v28, v30
	v_and_b32_e32 v12, v29, v31
	s_waitcnt vmcnt(0)
	v_mad_u64_u32 v[1:2], null, v1, 24, v[32:33]
	v_mad_u64_u32 v[28:29], null, v12, 24, v[2:3]
	v_mov_b32_e32 v2, v28
	global_load_dwordx2 v[28:29], v[1:2], off glc dlc
	s_waitcnt vmcnt(0)
	global_atomic_cmpswap_x2 v[1:2], v13, v[28:31], s[6:7] offset:24 glc
	s_waitcnt vmcnt(0)
	buffer_gl1_inv
	buffer_gl0_inv
	v_cmp_eq_u64_e32 vcc_lo, v[1:2], v[30:31]
	s_or_b32 s17, vcc_lo, s17
	s_andn2_b32 exec_lo, exec_lo, s17
	s_cbranch_execnz .LBB9_197
; %bb.198:                              ;   in Loop: Header=BB9_145 Depth=1
	s_or_b32 exec_lo, exec_lo, s17
.LBB9_199:                              ;   in Loop: Header=BB9_145 Depth=1
	s_or_b32 exec_lo, exec_lo, s16
.LBB9_200:                              ;   in Loop: Header=BB9_145 Depth=1
	s_or_b32 exec_lo, exec_lo, s5
	s_clause 0x1
	global_load_dwordx2 v[32:33], v13, s[6:7] offset:40
	global_load_dwordx4 v[28:31], v13, s[6:7]
	v_readfirstlane_b32 s17, v2
	v_readfirstlane_b32 s16, v1
	s_mov_b32 s5, exec_lo
	s_waitcnt vmcnt(1)
	v_readfirstlane_b32 s18, v32
	v_readfirstlane_b32 s19, v33
	s_and_b64 s[18:19], s[18:19], s[16:17]
	s_mul_i32 s20, s19, 24
	s_mul_hi_u32 s21, s18, 24
	s_mul_i32 s22, s18, 24
	s_add_i32 s21, s21, s20
	s_waitcnt vmcnt(0)
	v_add_co_u32 v1, vcc_lo, v28, s22
	v_add_co_ci_u32_e64 v2, null, s21, v29, vcc_lo
	s_and_saveexec_b32 s20, s4
	s_cbranch_execz .LBB9_202
; %bb.201:                              ;   in Loop: Header=BB9_145 Depth=1
	v_mov_b32_e32 v12, s5
	global_store_dwordx4 v[1:2], v[12:15], off offset:8
.LBB9_202:                              ;   in Loop: Header=BB9_145 Depth=1
	s_or_b32 exec_lo, exec_lo, s20
	v_cmp_lt_u64_e64 vcc_lo, s[12:13], 57
	s_lshl_b64 s[18:19], s[18:19], 12
	v_and_b32_e32 v8, 0xffffff1f, v8
	s_lshl_b32 s5, s14, 2
	s_add_i32 s5, s5, 28
	v_cndmask_b32_e32 v12, 0, v3, vcc_lo
	v_add_co_u32 v30, vcc_lo, v30, s18
	v_add_co_ci_u32_e64 v31, null, s19, v31, vcc_lo
	v_or_b32_e32 v8, v8, v12
	v_readfirstlane_b32 s18, v30
	v_readfirstlane_b32 s19, v31
	v_and_or_b32 v8, 0x1e0, s5, v8
	global_store_dwordx4 v35, v[16:19], s[18:19] offset:16
	global_store_dwordx4 v35, v[8:11], s[18:19]
	global_store_dwordx4 v35, v[20:23], s[18:19] offset:32
	global_store_dwordx4 v35, v[24:27], s[18:19] offset:48
	s_and_saveexec_b32 s5, s4
	s_cbranch_execz .LBB9_210
; %bb.203:                              ;   in Loop: Header=BB9_145 Depth=1
	s_clause 0x1
	global_load_dwordx2 v[20:21], v13, s[6:7] offset:32 glc dlc
	global_load_dwordx2 v[8:9], v13, s[6:7] offset:40
	v_mov_b32_e32 v18, s16
	v_mov_b32_e32 v19, s17
	s_waitcnt vmcnt(0)
	v_readfirstlane_b32 s18, v8
	v_readfirstlane_b32 s19, v9
	s_and_b64 s[18:19], s[18:19], s[16:17]
	s_mul_i32 s19, s19, 24
	s_mul_hi_u32 s20, s18, 24
	s_mul_i32 s18, s18, 24
	s_add_i32 s20, s20, s19
	v_add_co_u32 v16, vcc_lo, v28, s18
	v_add_co_ci_u32_e64 v17, null, s20, v29, vcc_lo
	s_mov_b32 s18, exec_lo
	global_store_dwordx2 v[16:17], v[20:21], off
	s_waitcnt_vscnt null, 0x0
	global_atomic_cmpswap_x2 v[10:11], v13, v[18:21], s[6:7] offset:32 glc
	s_waitcnt vmcnt(0)
	v_cmpx_ne_u64_e64 v[10:11], v[20:21]
	s_cbranch_execz .LBB9_206
; %bb.204:                              ;   in Loop: Header=BB9_145 Depth=1
	s_mov_b32 s19, 0
.LBB9_205:                              ;   Parent Loop BB9_145 Depth=1
                                        ; =>  This Inner Loop Header: Depth=2
	v_mov_b32_e32 v8, s16
	v_mov_b32_e32 v9, s17
	s_sleep 1
	global_store_dwordx2 v[16:17], v[10:11], off
	s_waitcnt_vscnt null, 0x0
	global_atomic_cmpswap_x2 v[8:9], v13, v[8:11], s[6:7] offset:32 glc
	s_waitcnt vmcnt(0)
	v_cmp_eq_u64_e32 vcc_lo, v[8:9], v[10:11]
	v_mov_b32_e32 v11, v9
	v_mov_b32_e32 v10, v8
	s_or_b32 s19, vcc_lo, s19
	s_andn2_b32 exec_lo, exec_lo, s19
	s_cbranch_execnz .LBB9_205
.LBB9_206:                              ;   in Loop: Header=BB9_145 Depth=1
	s_or_b32 exec_lo, exec_lo, s18
	global_load_dwordx2 v[8:9], v13, s[6:7] offset:16
	s_mov_b32 s19, exec_lo
	s_mov_b32 s18, exec_lo
	v_mbcnt_lo_u32_b32 v10, s19, 0
	v_cmpx_eq_u32_e32 0, v10
	s_cbranch_execz .LBB9_208
; %bb.207:                              ;   in Loop: Header=BB9_145 Depth=1
	s_bcnt1_i32_b32 s19, s19
	v_mov_b32_e32 v12, s19
	s_waitcnt vmcnt(0)
	global_atomic_add_x2 v[8:9], v[12:13], off offset:8
.LBB9_208:                              ;   in Loop: Header=BB9_145 Depth=1
	s_or_b32 exec_lo, exec_lo, s18
	s_waitcnt vmcnt(0)
	global_load_dwordx2 v[10:11], v[8:9], off offset:16
	s_waitcnt vmcnt(0)
	v_cmp_eq_u64_e32 vcc_lo, 0, v[10:11]
	s_cbranch_vccnz .LBB9_210
; %bb.209:                              ;   in Loop: Header=BB9_145 Depth=1
	global_load_dword v12, v[8:9], off offset:24
	s_waitcnt vmcnt(0)
	v_readfirstlane_b32 s18, v12
	s_waitcnt_vscnt null, 0x0
	global_store_dwordx2 v[10:11], v[12:13], off
	s_and_b32 m0, s18, 0x7fffff
	s_sendmsg sendmsg(MSG_INTERRUPT)
.LBB9_210:                              ;   in Loop: Header=BB9_145 Depth=1
	s_or_b32 exec_lo, exec_lo, s5
	v_add_co_u32 v8, vcc_lo, v30, v35
	v_add_co_ci_u32_e64 v9, null, 0, v31, vcc_lo
	s_branch .LBB9_214
	.p2align	6
.LBB9_211:                              ;   in Loop: Header=BB9_214 Depth=2
	s_or_b32 exec_lo, exec_lo, s5
	v_readfirstlane_b32 s5, v10
	s_cmp_eq_u32 s5, 0
	s_cbranch_scc1 .LBB9_213
; %bb.212:                              ;   in Loop: Header=BB9_214 Depth=2
	s_sleep 1
	s_cbranch_execnz .LBB9_214
	s_branch .LBB9_216
	.p2align	6
.LBB9_213:                              ;   in Loop: Header=BB9_145 Depth=1
	s_branch .LBB9_216
.LBB9_214:                              ;   Parent Loop BB9_145 Depth=1
                                        ; =>  This Inner Loop Header: Depth=2
	v_mov_b32_e32 v10, 1
	s_and_saveexec_b32 s5, s4
	s_cbranch_execz .LBB9_211
; %bb.215:                              ;   in Loop: Header=BB9_214 Depth=2
	global_load_dword v10, v[1:2], off offset:20 glc dlc
	s_waitcnt vmcnt(0)
	buffer_gl1_inv
	buffer_gl0_inv
	v_and_b32_e32 v10, 1, v10
	s_branch .LBB9_211
.LBB9_216:                              ;   in Loop: Header=BB9_145 Depth=1
	global_load_dwordx2 v[8:9], v[8:9], off
	s_and_saveexec_b32 s18, s4
	s_cbranch_execz .LBB9_144
; %bb.217:                              ;   in Loop: Header=BB9_145 Depth=1
	s_clause 0x2
	global_load_dwordx2 v[1:2], v13, s[6:7] offset:40
	global_load_dwordx2 v[20:21], v13, s[6:7] offset:24 glc dlc
	global_load_dwordx2 v[10:11], v13, s[6:7]
	s_waitcnt vmcnt(2)
	v_readfirstlane_b32 s20, v1
	v_readfirstlane_b32 s21, v2
	s_add_u32 s19, s20, 1
	s_addc_u32 s22, s21, 0
	s_add_u32 s4, s19, s16
	s_addc_u32 s5, s22, s17
	s_cmp_eq_u64 s[4:5], 0
	s_cselect_b32 s5, s22, s5
	s_cselect_b32 s4, s19, s4
	v_mov_b32_e32 v19, s5
	s_and_b64 s[16:17], s[4:5], s[20:21]
	v_mov_b32_e32 v18, s4
	s_mul_i32 s17, s17, 24
	s_mul_hi_u32 s19, s16, 24
	s_mul_i32 s16, s16, 24
	s_add_i32 s19, s19, s17
	s_waitcnt vmcnt(0)
	v_add_co_u32 v1, vcc_lo, v10, s16
	v_add_co_ci_u32_e64 v2, null, s19, v11, vcc_lo
	global_store_dwordx2 v[1:2], v[20:21], off
	s_waitcnt_vscnt null, 0x0
	global_atomic_cmpswap_x2 v[18:19], v13, v[18:21], s[6:7] offset:24 glc
	s_waitcnt vmcnt(0)
	v_cmp_ne_u64_e32 vcc_lo, v[18:19], v[20:21]
	s_and_b32 exec_lo, exec_lo, vcc_lo
	s_cbranch_execz .LBB9_144
; %bb.218:                              ;   in Loop: Header=BB9_145 Depth=1
	s_mov_b32 s16, 0
.LBB9_219:                              ;   Parent Loop BB9_145 Depth=1
                                        ; =>  This Inner Loop Header: Depth=2
	v_mov_b32_e32 v16, s4
	v_mov_b32_e32 v17, s5
	s_sleep 1
	global_store_dwordx2 v[1:2], v[18:19], off
	s_waitcnt_vscnt null, 0x0
	global_atomic_cmpswap_x2 v[10:11], v13, v[16:19], s[6:7] offset:24 glc
	s_waitcnt vmcnt(0)
	v_cmp_eq_u64_e32 vcc_lo, v[10:11], v[18:19]
	v_mov_b32_e32 v19, v11
	v_mov_b32_e32 v18, v10
	s_or_b32 s16, vcc_lo, s16
	s_andn2_b32 exec_lo, exec_lo, s16
	s_cbranch_execnz .LBB9_219
	s_branch .LBB9_144
.LBB9_220:
                                        ; implicit-def: $vgpr8_vgpr9
	s_cbranch_execnz .LBB9_222
	s_branch .LBB9_249
.LBB9_221:
	s_branch .LBB9_249
.LBB9_222:
	v_readfirstlane_b32 s4, v34
	v_mov_b32_e32 v1, 0
	v_mov_b32_e32 v2, 0
	v_cmp_eq_u32_e64 s4, s4, v34
	s_and_saveexec_b32 s5, s4
	s_cbranch_execz .LBB9_228
; %bb.223:
	v_mov_b32_e32 v3, 0
	s_mov_b32 s10, exec_lo
	global_load_dwordx2 v[10:11], v3, s[6:7] offset:24 glc dlc
	s_waitcnt vmcnt(0)
	buffer_gl1_inv
	buffer_gl0_inv
	s_clause 0x1
	global_load_dwordx2 v[1:2], v3, s[6:7] offset:40
	global_load_dwordx2 v[8:9], v3, s[6:7]
	s_waitcnt vmcnt(1)
	v_and_b32_e32 v2, v2, v11
	v_and_b32_e32 v1, v1, v10
	v_mul_lo_u32 v2, v2, 24
	v_mul_hi_u32 v12, v1, 24
	v_mul_lo_u32 v1, v1, 24
	v_add_nc_u32_e32 v2, v12, v2
	s_waitcnt vmcnt(0)
	v_add_co_u32 v1, vcc_lo, v8, v1
	v_add_co_ci_u32_e64 v2, null, v9, v2, vcc_lo
	global_load_dwordx2 v[8:9], v[1:2], off glc dlc
	s_waitcnt vmcnt(0)
	global_atomic_cmpswap_x2 v[1:2], v3, v[8:11], s[6:7] offset:24 glc
	s_waitcnt vmcnt(0)
	buffer_gl1_inv
	buffer_gl0_inv
	v_cmpx_ne_u64_e64 v[1:2], v[10:11]
	s_cbranch_execz .LBB9_227
; %bb.224:
	s_mov_b32 s11, 0
	.p2align	6
.LBB9_225:                              ; =>This Inner Loop Header: Depth=1
	s_sleep 1
	s_clause 0x1
	global_load_dwordx2 v[8:9], v3, s[6:7] offset:40
	global_load_dwordx2 v[12:13], v3, s[6:7]
	v_mov_b32_e32 v11, v2
	v_mov_b32_e32 v10, v1
	s_waitcnt vmcnt(1)
	v_and_b32_e32 v1, v8, v10
	v_and_b32_e32 v8, v9, v11
	s_waitcnt vmcnt(0)
	v_mad_u64_u32 v[1:2], null, v1, 24, v[12:13]
	v_mad_u64_u32 v[8:9], null, v8, 24, v[2:3]
	v_mov_b32_e32 v2, v8
	global_load_dwordx2 v[8:9], v[1:2], off glc dlc
	s_waitcnt vmcnt(0)
	global_atomic_cmpswap_x2 v[1:2], v3, v[8:11], s[6:7] offset:24 glc
	s_waitcnt vmcnt(0)
	buffer_gl1_inv
	buffer_gl0_inv
	v_cmp_eq_u64_e32 vcc_lo, v[1:2], v[10:11]
	s_or_b32 s11, vcc_lo, s11
	s_andn2_b32 exec_lo, exec_lo, s11
	s_cbranch_execnz .LBB9_225
; %bb.226:
	s_or_b32 exec_lo, exec_lo, s11
.LBB9_227:
	s_or_b32 exec_lo, exec_lo, s10
.LBB9_228:
	s_or_b32 exec_lo, exec_lo, s5
	s_waitcnt vmcnt(0)
	v_mov_b32_e32 v8, 0
	v_readfirstlane_b32 s11, v2
	v_readfirstlane_b32 s10, v1
	s_mov_b32 s5, exec_lo
	s_clause 0x1
	global_load_dwordx2 v[14:15], v8, s[6:7] offset:40
	global_load_dwordx4 v[10:13], v8, s[6:7]
	s_waitcnt vmcnt(1)
	v_readfirstlane_b32 s12, v14
	v_readfirstlane_b32 s13, v15
	s_and_b64 s[12:13], s[12:13], s[10:11]
	s_mul_i32 s14, s13, 24
	s_mul_hi_u32 s15, s12, 24
	s_mul_i32 s16, s12, 24
	s_add_i32 s15, s15, s14
	s_waitcnt vmcnt(0)
	v_add_co_u32 v1, vcc_lo, v10, s16
	v_add_co_ci_u32_e64 v2, null, s15, v11, vcc_lo
	s_and_saveexec_b32 s14, s4
	s_cbranch_execz .LBB9_230
; %bb.229:
	v_mov_b32_e32 v14, s5
	v_mov_b32_e32 v15, v8
	;; [unrolled: 1-line block ×4, first 2 shown]
	global_store_dwordx4 v[1:2], v[14:17], off offset:8
.LBB9_230:
	s_or_b32 exec_lo, exec_lo, s14
	s_lshl_b64 s[12:13], s[12:13], 12
	v_and_or_b32 v6, 0xffffff1f, v6, 32
	v_add_co_u32 v3, vcc_lo, v12, s12
	v_add_co_ci_u32_e64 v13, null, s13, v13, vcc_lo
	s_mov_b32 s12, 0
	v_add_co_u32 v12, vcc_lo, v3, v35
	s_mov_b32 s15, s12
	s_mov_b32 s13, s12
	;; [unrolled: 1-line block ×3, first 2 shown]
	v_mov_b32_e32 v9, v8
	v_readfirstlane_b32 s16, v3
	v_readfirstlane_b32 s17, v13
	v_mov_b32_e32 v17, s15
	v_add_co_ci_u32_e64 v13, null, 0, v13, vcc_lo
	v_mov_b32_e32 v16, s14
	v_mov_b32_e32 v15, s13
	;; [unrolled: 1-line block ×3, first 2 shown]
	global_store_dwordx4 v35, v[6:9], s[16:17]
	global_store_dwordx4 v35, v[14:17], s[16:17] offset:16
	global_store_dwordx4 v35, v[14:17], s[16:17] offset:32
	;; [unrolled: 1-line block ×3, first 2 shown]
	s_and_saveexec_b32 s5, s4
	s_cbranch_execz .LBB9_238
; %bb.231:
	v_mov_b32_e32 v3, 0
	v_mov_b32_e32 v14, s10
	v_mov_b32_e32 v15, s11
	s_clause 0x1
	global_load_dwordx2 v[16:17], v3, s[6:7] offset:32 glc dlc
	global_load_dwordx2 v[6:7], v3, s[6:7] offset:40
	s_waitcnt vmcnt(0)
	v_readfirstlane_b32 s12, v6
	v_readfirstlane_b32 s13, v7
	s_and_b64 s[12:13], s[12:13], s[10:11]
	s_mul_i32 s13, s13, 24
	s_mul_hi_u32 s14, s12, 24
	s_mul_i32 s12, s12, 24
	s_add_i32 s14, s14, s13
	v_add_co_u32 v10, vcc_lo, v10, s12
	v_add_co_ci_u32_e64 v11, null, s14, v11, vcc_lo
	s_mov_b32 s12, exec_lo
	global_store_dwordx2 v[10:11], v[16:17], off
	s_waitcnt_vscnt null, 0x0
	global_atomic_cmpswap_x2 v[8:9], v3, v[14:17], s[6:7] offset:32 glc
	s_waitcnt vmcnt(0)
	v_cmpx_ne_u64_e64 v[8:9], v[16:17]
	s_cbranch_execz .LBB9_234
; %bb.232:
	s_mov_b32 s13, 0
.LBB9_233:                              ; =>This Inner Loop Header: Depth=1
	v_mov_b32_e32 v6, s10
	v_mov_b32_e32 v7, s11
	s_sleep 1
	global_store_dwordx2 v[10:11], v[8:9], off
	s_waitcnt_vscnt null, 0x0
	global_atomic_cmpswap_x2 v[6:7], v3, v[6:9], s[6:7] offset:32 glc
	s_waitcnt vmcnt(0)
	v_cmp_eq_u64_e32 vcc_lo, v[6:7], v[8:9]
	v_mov_b32_e32 v9, v7
	v_mov_b32_e32 v8, v6
	s_or_b32 s13, vcc_lo, s13
	s_andn2_b32 exec_lo, exec_lo, s13
	s_cbranch_execnz .LBB9_233
.LBB9_234:
	s_or_b32 exec_lo, exec_lo, s12
	v_mov_b32_e32 v9, 0
	s_mov_b32 s13, exec_lo
	s_mov_b32 s12, exec_lo
	v_mbcnt_lo_u32_b32 v3, s13, 0
	global_load_dwordx2 v[6:7], v9, s[6:7] offset:16
	v_cmpx_eq_u32_e32 0, v3
	s_cbranch_execz .LBB9_236
; %bb.235:
	s_bcnt1_i32_b32 s13, s13
	v_mov_b32_e32 v8, s13
	s_waitcnt vmcnt(0)
	global_atomic_add_x2 v[6:7], v[8:9], off offset:8
.LBB9_236:
	s_or_b32 exec_lo, exec_lo, s12
	s_waitcnt vmcnt(0)
	global_load_dwordx2 v[8:9], v[6:7], off offset:16
	s_waitcnt vmcnt(0)
	v_cmp_eq_u64_e32 vcc_lo, 0, v[8:9]
	s_cbranch_vccnz .LBB9_238
; %bb.237:
	global_load_dword v6, v[6:7], off offset:24
	v_mov_b32_e32 v7, 0
	s_waitcnt vmcnt(0)
	v_readfirstlane_b32 s12, v6
	s_waitcnt_vscnt null, 0x0
	global_store_dwordx2 v[8:9], v[6:7], off
	s_and_b32 m0, s12, 0x7fffff
	s_sendmsg sendmsg(MSG_INTERRUPT)
.LBB9_238:
	s_or_b32 exec_lo, exec_lo, s5
	s_branch .LBB9_242
	.p2align	6
.LBB9_239:                              ;   in Loop: Header=BB9_242 Depth=1
	s_or_b32 exec_lo, exec_lo, s5
	v_readfirstlane_b32 s5, v3
	s_cmp_eq_u32 s5, 0
	s_cbranch_scc1 .LBB9_241
; %bb.240:                              ;   in Loop: Header=BB9_242 Depth=1
	s_sleep 1
	s_cbranch_execnz .LBB9_242
	s_branch .LBB9_244
	.p2align	6
.LBB9_241:
	s_branch .LBB9_244
.LBB9_242:                              ; =>This Inner Loop Header: Depth=1
	v_mov_b32_e32 v3, 1
	s_and_saveexec_b32 s5, s4
	s_cbranch_execz .LBB9_239
; %bb.243:                              ;   in Loop: Header=BB9_242 Depth=1
	global_load_dword v3, v[1:2], off offset:20 glc dlc
	s_waitcnt vmcnt(0)
	buffer_gl1_inv
	buffer_gl0_inv
	v_and_b32_e32 v3, 1, v3
	s_branch .LBB9_239
.LBB9_244:
	global_load_dwordx2 v[8:9], v[12:13], off
	s_and_saveexec_b32 s12, s4
	s_cbranch_execz .LBB9_248
; %bb.245:
	v_mov_b32_e32 v3, 0
	s_clause 0x2
	global_load_dwordx2 v[1:2], v3, s[6:7] offset:40
	global_load_dwordx2 v[14:15], v3, s[6:7] offset:24 glc dlc
	global_load_dwordx2 v[6:7], v3, s[6:7]
	s_waitcnt vmcnt(2)
	v_readfirstlane_b32 s14, v1
	v_readfirstlane_b32 s15, v2
	s_add_u32 s13, s14, 1
	s_addc_u32 s16, s15, 0
	s_add_u32 s4, s13, s10
	s_addc_u32 s5, s16, s11
	s_cmp_eq_u64 s[4:5], 0
	s_cselect_b32 s5, s16, s5
	s_cselect_b32 s4, s13, s4
	v_mov_b32_e32 v13, s5
	s_and_b64 s[10:11], s[4:5], s[14:15]
	v_mov_b32_e32 v12, s4
	s_mul_i32 s11, s11, 24
	s_mul_hi_u32 s13, s10, 24
	s_mul_i32 s10, s10, 24
	s_add_i32 s13, s13, s11
	s_waitcnt vmcnt(0)
	v_add_co_u32 v1, vcc_lo, v6, s10
	v_add_co_ci_u32_e64 v2, null, s13, v7, vcc_lo
	global_store_dwordx2 v[1:2], v[14:15], off
	s_waitcnt_vscnt null, 0x0
	global_atomic_cmpswap_x2 v[12:13], v3, v[12:15], s[6:7] offset:24 glc
	s_waitcnt vmcnt(0)
	v_cmp_ne_u64_e32 vcc_lo, v[12:13], v[14:15]
	s_and_b32 exec_lo, exec_lo, vcc_lo
	s_cbranch_execz .LBB9_248
; %bb.246:
	s_mov_b32 s10, 0
.LBB9_247:                              ; =>This Inner Loop Header: Depth=1
	v_mov_b32_e32 v10, s4
	v_mov_b32_e32 v11, s5
	s_sleep 1
	global_store_dwordx2 v[1:2], v[12:13], off
	s_waitcnt_vscnt null, 0x0
	global_atomic_cmpswap_x2 v[6:7], v3, v[10:13], s[6:7] offset:24 glc
	s_waitcnt vmcnt(0)
	v_cmp_eq_u64_e32 vcc_lo, v[6:7], v[12:13]
	v_mov_b32_e32 v13, v7
	v_mov_b32_e32 v12, v6
	s_or_b32 s10, vcc_lo, s10
	s_andn2_b32 exec_lo, exec_lo, s10
	s_cbranch_execnz .LBB9_247
.LBB9_248:
	s_or_b32 exec_lo, exec_lo, s12
.LBB9_249:
	v_readfirstlane_b32 s4, v34
	v_mov_b32_e32 v1, 0
	v_mov_b32_e32 v2, 0
	v_cmp_eq_u32_e64 s4, s4, v34
	s_and_saveexec_b32 s5, s4
	s_cbranch_execz .LBB9_255
; %bb.250:
	v_mov_b32_e32 v3, 0
	s_mov_b32 s10, exec_lo
	global_load_dwordx2 v[12:13], v3, s[6:7] offset:24 glc dlc
	s_waitcnt vmcnt(0)
	buffer_gl1_inv
	buffer_gl0_inv
	s_clause 0x1
	global_load_dwordx2 v[1:2], v3, s[6:7] offset:40
	global_load_dwordx2 v[6:7], v3, s[6:7]
	s_waitcnt vmcnt(1)
	v_and_b32_e32 v2, v2, v13
	v_and_b32_e32 v1, v1, v12
	v_mul_lo_u32 v2, v2, 24
	v_mul_hi_u32 v10, v1, 24
	v_mul_lo_u32 v1, v1, 24
	v_add_nc_u32_e32 v2, v10, v2
	s_waitcnt vmcnt(0)
	v_add_co_u32 v1, vcc_lo, v6, v1
	v_add_co_ci_u32_e64 v2, null, v7, v2, vcc_lo
	global_load_dwordx2 v[10:11], v[1:2], off glc dlc
	s_waitcnt vmcnt(0)
	global_atomic_cmpswap_x2 v[1:2], v3, v[10:13], s[6:7] offset:24 glc
	s_waitcnt vmcnt(0)
	buffer_gl1_inv
	buffer_gl0_inv
	v_cmpx_ne_u64_e64 v[1:2], v[12:13]
	s_cbranch_execz .LBB9_254
; %bb.251:
	s_mov_b32 s11, 0
	.p2align	6
.LBB9_252:                              ; =>This Inner Loop Header: Depth=1
	s_sleep 1
	s_clause 0x1
	global_load_dwordx2 v[6:7], v3, s[6:7] offset:40
	global_load_dwordx2 v[10:11], v3, s[6:7]
	v_mov_b32_e32 v13, v2
	v_mov_b32_e32 v12, v1
	s_waitcnt vmcnt(1)
	v_and_b32_e32 v1, v6, v12
	v_and_b32_e32 v6, v7, v13
	s_waitcnt vmcnt(0)
	v_mad_u64_u32 v[1:2], null, v1, 24, v[10:11]
	v_mad_u64_u32 v[6:7], null, v6, 24, v[2:3]
	v_mov_b32_e32 v2, v6
	global_load_dwordx2 v[10:11], v[1:2], off glc dlc
	s_waitcnt vmcnt(0)
	global_atomic_cmpswap_x2 v[1:2], v3, v[10:13], s[6:7] offset:24 glc
	s_waitcnt vmcnt(0)
	buffer_gl1_inv
	buffer_gl0_inv
	v_cmp_eq_u64_e32 vcc_lo, v[1:2], v[12:13]
	s_or_b32 s11, vcc_lo, s11
	s_andn2_b32 exec_lo, exec_lo, s11
	s_cbranch_execnz .LBB9_252
; %bb.253:
	s_or_b32 exec_lo, exec_lo, s11
.LBB9_254:
	s_or_b32 exec_lo, exec_lo, s10
.LBB9_255:
	s_or_b32 exec_lo, exec_lo, s5
	v_mov_b32_e32 v11, 0
	v_readfirstlane_b32 s11, v2
	v_readfirstlane_b32 s10, v1
	s_mov_b32 s5, exec_lo
	s_clause 0x1
	global_load_dwordx2 v[6:7], v11, s[6:7] offset:40
	global_load_dwordx4 v[12:15], v11, s[6:7]
	s_waitcnt vmcnt(1)
	v_readfirstlane_b32 s12, v6
	v_readfirstlane_b32 s13, v7
	s_and_b64 s[12:13], s[12:13], s[10:11]
	s_mul_i32 s14, s13, 24
	s_mul_hi_u32 s15, s12, 24
	s_mul_i32 s16, s12, 24
	s_add_i32 s15, s15, s14
	s_waitcnt vmcnt(0)
	v_add_co_u32 v6, vcc_lo, v12, s16
	v_add_co_ci_u32_e64 v7, null, s15, v13, vcc_lo
	s_and_saveexec_b32 s14, s4
	s_cbranch_execz .LBB9_257
; %bb.256:
	v_mov_b32_e32 v10, s5
	v_mov_b32_e32 v17, v11
	;; [unrolled: 1-line block ×5, first 2 shown]
	global_store_dwordx4 v[6:7], v[16:19], off offset:8
.LBB9_257:
	s_or_b32 exec_lo, exec_lo, s14
	s_lshl_b64 s[12:13], s[12:13], 12
	v_and_or_b32 v8, 0xffffff1f, v8, 32
	v_add_co_u32 v14, vcc_lo, v14, s12
	v_add_co_ci_u32_e64 v15, null, s13, v15, vcc_lo
	s_mov_b32 s12, 0
	v_readfirstlane_b32 s16, v14
	v_add_co_u32 v14, vcc_lo, v14, v35
	s_mov_b32 s13, s12
	s_mov_b32 s14, s12
	;; [unrolled: 1-line block ×3, first 2 shown]
	v_mov_b32_e32 v10, v0
	v_readfirstlane_b32 s17, v15
	v_mov_b32_e32 v0, s12
	v_add_co_ci_u32_e64 v15, null, 0, v15, vcc_lo
	v_mov_b32_e32 v1, s13
	v_mov_b32_e32 v2, s14
	;; [unrolled: 1-line block ×3, first 2 shown]
	global_store_dwordx4 v35, v[8:11], s[16:17]
	global_store_dwordx4 v35, v[0:3], s[16:17] offset:16
	global_store_dwordx4 v35, v[0:3], s[16:17] offset:32
	;; [unrolled: 1-line block ×3, first 2 shown]
	s_and_saveexec_b32 s5, s4
	s_cbranch_execz .LBB9_265
; %bb.258:
	v_mov_b32_e32 v10, 0
	v_mov_b32_e32 v16, s10
	;; [unrolled: 1-line block ×3, first 2 shown]
	s_clause 0x1
	global_load_dwordx2 v[18:19], v10, s[6:7] offset:32 glc dlc
	global_load_dwordx2 v[0:1], v10, s[6:7] offset:40
	s_waitcnt vmcnt(0)
	v_readfirstlane_b32 s12, v0
	v_readfirstlane_b32 s13, v1
	s_and_b64 s[12:13], s[12:13], s[10:11]
	s_mul_i32 s13, s13, 24
	s_mul_hi_u32 s14, s12, 24
	s_mul_i32 s12, s12, 24
	s_add_i32 s14, s14, s13
	v_add_co_u32 v8, vcc_lo, v12, s12
	v_add_co_ci_u32_e64 v9, null, s14, v13, vcc_lo
	s_mov_b32 s12, exec_lo
	global_store_dwordx2 v[8:9], v[18:19], off
	s_waitcnt_vscnt null, 0x0
	global_atomic_cmpswap_x2 v[2:3], v10, v[16:19], s[6:7] offset:32 glc
	s_waitcnt vmcnt(0)
	v_cmpx_ne_u64_e64 v[2:3], v[18:19]
	s_cbranch_execz .LBB9_261
; %bb.259:
	s_mov_b32 s13, 0
.LBB9_260:                              ; =>This Inner Loop Header: Depth=1
	v_mov_b32_e32 v0, s10
	v_mov_b32_e32 v1, s11
	s_sleep 1
	global_store_dwordx2 v[8:9], v[2:3], off
	s_waitcnt_vscnt null, 0x0
	global_atomic_cmpswap_x2 v[0:1], v10, v[0:3], s[6:7] offset:32 glc
	s_waitcnt vmcnt(0)
	v_cmp_eq_u64_e32 vcc_lo, v[0:1], v[2:3]
	v_mov_b32_e32 v3, v1
	v_mov_b32_e32 v2, v0
	s_or_b32 s13, vcc_lo, s13
	s_andn2_b32 exec_lo, exec_lo, s13
	s_cbranch_execnz .LBB9_260
.LBB9_261:
	s_or_b32 exec_lo, exec_lo, s12
	v_mov_b32_e32 v3, 0
	s_mov_b32 s13, exec_lo
	s_mov_b32 s12, exec_lo
	v_mbcnt_lo_u32_b32 v2, s13, 0
	global_load_dwordx2 v[0:1], v3, s[6:7] offset:16
	v_cmpx_eq_u32_e32 0, v2
	s_cbranch_execz .LBB9_263
; %bb.262:
	s_bcnt1_i32_b32 s13, s13
	v_mov_b32_e32 v2, s13
	s_waitcnt vmcnt(0)
	global_atomic_add_x2 v[0:1], v[2:3], off offset:8
.LBB9_263:
	s_or_b32 exec_lo, exec_lo, s12
	s_waitcnt vmcnt(0)
	global_load_dwordx2 v[2:3], v[0:1], off offset:16
	s_waitcnt vmcnt(0)
	v_cmp_eq_u64_e32 vcc_lo, 0, v[2:3]
	s_cbranch_vccnz .LBB9_265
; %bb.264:
	global_load_dword v0, v[0:1], off offset:24
	v_mov_b32_e32 v1, 0
	s_waitcnt vmcnt(0)
	v_readfirstlane_b32 s12, v0
	s_waitcnt_vscnt null, 0x0
	global_store_dwordx2 v[2:3], v[0:1], off
	s_and_b32 m0, s12, 0x7fffff
	s_sendmsg sendmsg(MSG_INTERRUPT)
.LBB9_265:
	s_or_b32 exec_lo, exec_lo, s5
	s_branch .LBB9_269
	.p2align	6
.LBB9_266:                              ;   in Loop: Header=BB9_269 Depth=1
	s_or_b32 exec_lo, exec_lo, s5
	v_readfirstlane_b32 s5, v0
	s_cmp_eq_u32 s5, 0
	s_cbranch_scc1 .LBB9_268
; %bb.267:                              ;   in Loop: Header=BB9_269 Depth=1
	s_sleep 1
	s_cbranch_execnz .LBB9_269
	s_branch .LBB9_271
	.p2align	6
.LBB9_268:
	s_branch .LBB9_271
.LBB9_269:                              ; =>This Inner Loop Header: Depth=1
	v_mov_b32_e32 v0, 1
	s_and_saveexec_b32 s5, s4
	s_cbranch_execz .LBB9_266
; %bb.270:                              ;   in Loop: Header=BB9_269 Depth=1
	global_load_dword v0, v[6:7], off offset:20 glc dlc
	s_waitcnt vmcnt(0)
	buffer_gl1_inv
	buffer_gl0_inv
	v_and_b32_e32 v0, 1, v0
	s_branch .LBB9_266
.LBB9_271:
	global_load_dwordx2 v[0:1], v[14:15], off
	s_and_saveexec_b32 s12, s4
	s_cbranch_execz .LBB9_275
; %bb.272:
	v_mov_b32_e32 v10, 0
	s_clause 0x2
	global_load_dwordx2 v[2:3], v10, s[6:7] offset:40
	global_load_dwordx2 v[13:14], v10, s[6:7] offset:24 glc dlc
	global_load_dwordx2 v[6:7], v10, s[6:7]
	s_waitcnt vmcnt(2)
	v_readfirstlane_b32 s14, v2
	v_readfirstlane_b32 s15, v3
	s_add_u32 s13, s14, 1
	s_addc_u32 s16, s15, 0
	s_add_u32 s4, s13, s10
	s_addc_u32 s5, s16, s11
	s_cmp_eq_u64 s[4:5], 0
	s_cselect_b32 s5, s16, s5
	s_cselect_b32 s4, s13, s4
	v_mov_b32_e32 v12, s5
	s_and_b64 s[10:11], s[4:5], s[14:15]
	v_mov_b32_e32 v11, s4
	s_mul_i32 s11, s11, 24
	s_mul_hi_u32 s13, s10, 24
	s_mul_i32 s10, s10, 24
	s_add_i32 s13, s13, s11
	s_waitcnt vmcnt(0)
	v_add_co_u32 v2, vcc_lo, v6, s10
	v_add_co_ci_u32_e64 v3, null, s13, v7, vcc_lo
	global_store_dwordx2 v[2:3], v[13:14], off
	s_waitcnt_vscnt null, 0x0
	global_atomic_cmpswap_x2 v[8:9], v10, v[11:14], s[6:7] offset:24 glc
	s_waitcnt vmcnt(0)
	v_cmp_ne_u64_e32 vcc_lo, v[8:9], v[13:14]
	s_and_b32 exec_lo, exec_lo, vcc_lo
	s_cbranch_execz .LBB9_275
; %bb.273:
	s_mov_b32 s10, 0
.LBB9_274:                              ; =>This Inner Loop Header: Depth=1
	v_mov_b32_e32 v6, s4
	v_mov_b32_e32 v7, s5
	s_sleep 1
	global_store_dwordx2 v[2:3], v[8:9], off
	s_waitcnt_vscnt null, 0x0
	global_atomic_cmpswap_x2 v[6:7], v10, v[6:9], s[6:7] offset:24 glc
	s_waitcnt vmcnt(0)
	v_cmp_eq_u64_e32 vcc_lo, v[6:7], v[8:9]
	v_mov_b32_e32 v9, v7
	v_mov_b32_e32 v8, v6
	s_or_b32 s10, vcc_lo, s10
	s_andn2_b32 exec_lo, exec_lo, s10
	s_cbranch_execnz .LBB9_274
.LBB9_275:
	s_or_b32 exec_lo, exec_lo, s12
	v_mov_b32_e32 v7, v5
	v_mov_b32_e32 v6, v4
	s_mov_b32 s4, 0
.LBB9_276:                              ; =>This Inner Loop Header: Depth=1
	global_load_ubyte v8, v[6:7], off
	v_add_co_u32 v2, vcc_lo, v6, 1
	v_add_co_ci_u32_e64 v3, null, 0, v7, vcc_lo
	v_mov_b32_e32 v7, v3
	v_mov_b32_e32 v6, v2
	s_waitcnt vmcnt(0)
	v_cmp_eq_u16_e32 vcc_lo, 0, v8
	s_or_b32 s4, vcc_lo, s4
	s_andn2_b32 exec_lo, exec_lo, s4
	s_cbranch_execnz .LBB9_276
; %bb.277:
	s_or_b32 exec_lo, exec_lo, s4
	s_mov_b32 s4, exec_lo
	v_cmpx_ne_u64_e32 0, v[4:5]
	s_xor_b32 s14, exec_lo, s4
	s_cbranch_execz .LBB9_363
; %bb.278:
	v_sub_nc_u32_e32 v26, v2, v4
	v_and_b32_e32 v32, 2, v0
	v_mov_b32_e32 v7, 0
	v_and_b32_e32 v0, -3, v0
	v_mov_b32_e32 v8, 2
	v_ashrrev_i32_e32 v27, 31, v26
	v_mov_b32_e32 v9, 1
	s_mov_b32 s16, 0
	s_mov_b32 s15, 0
	s_branch .LBB9_280
.LBB9_279:                              ;   in Loop: Header=BB9_280 Depth=1
	s_or_b32 exec_lo, exec_lo, s12
	v_sub_co_u32 v26, vcc_lo, v26, v28
	v_sub_co_ci_u32_e64 v27, null, v27, v29, vcc_lo
	v_add_co_u32 v4, s4, v4, v28
	v_add_co_ci_u32_e64 v5, null, v5, v29, s4
	v_cmp_eq_u64_e32 vcc_lo, 0, v[26:27]
	s_or_b32 s15, vcc_lo, s15
	s_andn2_b32 exec_lo, exec_lo, s15
	s_cbranch_execz .LBB9_362
.LBB9_280:                              ; =>This Loop Header: Depth=1
                                        ;     Child Loop BB9_283 Depth 2
                                        ;     Child Loop BB9_291 Depth 2
	;; [unrolled: 1-line block ×11, first 2 shown]
	v_cmp_gt_u64_e32 vcc_lo, 56, v[26:27]
	s_mov_b32 s5, exec_lo
	v_cndmask_b32_e32 v29, 0, v27, vcc_lo
	v_cndmask_b32_e32 v28, 56, v26, vcc_lo
	v_add_co_u32 v12, vcc_lo, v4, 8
	v_add_co_ci_u32_e64 v13, null, 0, v5, vcc_lo
	v_cmpx_gt_u64_e32 8, v[26:27]
	s_xor_b32 s5, exec_lo, s5
	s_cbranch_execz .LBB9_286
; %bb.281:                              ;   in Loop: Header=BB9_280 Depth=1
	v_mov_b32_e32 v2, 0
	v_mov_b32_e32 v3, 0
	s_mov_b32 s12, exec_lo
	v_cmpx_ne_u64_e32 0, v[26:27]
	s_cbranch_execz .LBB9_285
; %bb.282:                              ;   in Loop: Header=BB9_280 Depth=1
	v_lshlrev_b64 v[10:11], 3, v[28:29]
	v_mov_b32_e32 v2, 0
	v_mov_b32_e32 v12, v5
	;; [unrolled: 1-line block ×4, first 2 shown]
	s_mov_b64 s[10:11], 0
	s_mov_b32 s13, 0
	.p2align	6
.LBB9_283:                              ;   Parent Loop BB9_280 Depth=1
                                        ; =>  This Inner Loop Header: Depth=2
	global_load_ubyte v6, v[11:12], off
	v_mov_b32_e32 v14, s16
	v_add_co_u32 v11, vcc_lo, v11, 1
	v_add_co_ci_u32_e64 v12, null, 0, v12, vcc_lo
	s_waitcnt vmcnt(0)
	v_and_b32_e32 v13, 0xffff, v6
	v_lshlrev_b64 v[13:14], s10, v[13:14]
	s_add_u32 s10, s10, 8
	s_addc_u32 s11, s11, 0
	v_cmp_eq_u32_e64 s4, s10, v10
	v_or_b32_e32 v3, v14, v3
	v_or_b32_e32 v2, v13, v2
	s_or_b32 s13, s4, s13
	s_andn2_b32 exec_lo, exec_lo, s13
	s_cbranch_execnz .LBB9_283
; %bb.284:                              ;   in Loop: Header=BB9_280 Depth=1
	s_or_b32 exec_lo, exec_lo, s13
.LBB9_285:                              ;   in Loop: Header=BB9_280 Depth=1
	s_or_b32 exec_lo, exec_lo, s12
	v_mov_b32_e32 v13, v5
	v_mov_b32_e32 v12, v4
.LBB9_286:                              ;   in Loop: Header=BB9_280 Depth=1
	s_or_saveexec_b32 s4, s5
	v_mov_b32_e32 v6, 0
	s_xor_b32 exec_lo, exec_lo, s4
	s_cbranch_execz .LBB9_288
; %bb.287:                              ;   in Loop: Header=BB9_280 Depth=1
	global_load_dwordx2 v[2:3], v[4:5], off
	v_add_nc_u32_e32 v6, -8, v28
.LBB9_288:                              ;   in Loop: Header=BB9_280 Depth=1
	s_or_b32 exec_lo, exec_lo, s4
	v_add_co_u32 v14, s4, v12, 8
	v_add_co_ci_u32_e64 v15, null, 0, v13, s4
                                        ; implicit-def: $vgpr10_vgpr11
	s_mov_b32 s4, exec_lo
	v_cmpx_gt_u32_e32 8, v6
	s_xor_b32 s12, exec_lo, s4
	s_cbranch_execz .LBB9_294
; %bb.289:                              ;   in Loop: Header=BB9_280 Depth=1
	v_mov_b32_e32 v10, 0
	v_mov_b32_e32 v11, 0
	s_mov_b32 s13, exec_lo
	v_cmpx_ne_u32_e32 0, v6
	s_cbranch_execz .LBB9_293
; %bb.290:                              ;   in Loop: Header=BB9_280 Depth=1
	v_mov_b32_e32 v10, 0
	v_mov_b32_e32 v11, 0
	s_mov_b64 s[4:5], 0
	s_mov_b32 s17, 0
	s_mov_b64 s[10:11], 0
	.p2align	6
.LBB9_291:                              ;   Parent Loop BB9_280 Depth=1
                                        ; =>  This Inner Loop Header: Depth=2
	v_add_co_u32 v14, vcc_lo, v12, s10
	v_add_co_ci_u32_e64 v15, null, s11, v13, vcc_lo
	s_add_u32 s10, s10, 1
	s_addc_u32 s11, s11, 0
	v_cmp_eq_u32_e32 vcc_lo, s10, v6
	global_load_ubyte v14, v[14:15], off
	v_mov_b32_e32 v15, s16
	s_waitcnt vmcnt(0)
	v_and_b32_e32 v14, 0xffff, v14
	v_lshlrev_b64 v[14:15], s4, v[14:15]
	s_add_u32 s4, s4, 8
	s_addc_u32 s5, s5, 0
	s_or_b32 s17, vcc_lo, s17
	v_or_b32_e32 v11, v15, v11
	v_or_b32_e32 v10, v14, v10
	s_andn2_b32 exec_lo, exec_lo, s17
	s_cbranch_execnz .LBB9_291
; %bb.292:                              ;   in Loop: Header=BB9_280 Depth=1
	s_or_b32 exec_lo, exec_lo, s17
.LBB9_293:                              ;   in Loop: Header=BB9_280 Depth=1
	s_or_b32 exec_lo, exec_lo, s13
	v_mov_b32_e32 v15, v13
	v_mov_b32_e32 v14, v12
                                        ; implicit-def: $vgpr6
.LBB9_294:                              ;   in Loop: Header=BB9_280 Depth=1
	s_or_saveexec_b32 s4, s12
	v_mov_b32_e32 v18, 0
	s_xor_b32 exec_lo, exec_lo, s4
	s_cbranch_execz .LBB9_296
; %bb.295:                              ;   in Loop: Header=BB9_280 Depth=1
	global_load_dwordx2 v[10:11], v[12:13], off
	v_add_nc_u32_e32 v18, -8, v6
.LBB9_296:                              ;   in Loop: Header=BB9_280 Depth=1
	s_or_b32 exec_lo, exec_lo, s4
	v_add_co_u32 v16, s4, v14, 8
	v_add_co_ci_u32_e64 v17, null, 0, v15, s4
	s_mov_b32 s4, exec_lo
	v_cmpx_gt_u32_e32 8, v18
	s_xor_b32 s12, exec_lo, s4
	s_cbranch_execz .LBB9_302
; %bb.297:                              ;   in Loop: Header=BB9_280 Depth=1
	v_mov_b32_e32 v12, 0
	v_mov_b32_e32 v13, 0
	s_mov_b32 s13, exec_lo
	v_cmpx_ne_u32_e32 0, v18
	s_cbranch_execz .LBB9_301
; %bb.298:                              ;   in Loop: Header=BB9_280 Depth=1
	v_mov_b32_e32 v12, 0
	v_mov_b32_e32 v13, 0
	s_mov_b64 s[4:5], 0
	s_mov_b32 s17, 0
	s_mov_b64 s[10:11], 0
	.p2align	6
.LBB9_299:                              ;   Parent Loop BB9_280 Depth=1
                                        ; =>  This Inner Loop Header: Depth=2
	v_add_co_u32 v16, vcc_lo, v14, s10
	v_add_co_ci_u32_e64 v17, null, s11, v15, vcc_lo
	s_add_u32 s10, s10, 1
	s_addc_u32 s11, s11, 0
	v_cmp_eq_u32_e32 vcc_lo, s10, v18
	global_load_ubyte v6, v[16:17], off
	v_mov_b32_e32 v17, s16
	s_waitcnt vmcnt(0)
	v_and_b32_e32 v16, 0xffff, v6
	v_lshlrev_b64 v[16:17], s4, v[16:17]
	s_add_u32 s4, s4, 8
	s_addc_u32 s5, s5, 0
	s_or_b32 s17, vcc_lo, s17
	v_or_b32_e32 v13, v17, v13
	v_or_b32_e32 v12, v16, v12
	s_andn2_b32 exec_lo, exec_lo, s17
	s_cbranch_execnz .LBB9_299
; %bb.300:                              ;   in Loop: Header=BB9_280 Depth=1
	s_or_b32 exec_lo, exec_lo, s17
.LBB9_301:                              ;   in Loop: Header=BB9_280 Depth=1
	s_or_b32 exec_lo, exec_lo, s13
	v_mov_b32_e32 v17, v15
	v_mov_b32_e32 v16, v14
                                        ; implicit-def: $vgpr18
.LBB9_302:                              ;   in Loop: Header=BB9_280 Depth=1
	s_or_saveexec_b32 s4, s12
	v_mov_b32_e32 v6, 0
	s_xor_b32 exec_lo, exec_lo, s4
	s_cbranch_execz .LBB9_304
; %bb.303:                              ;   in Loop: Header=BB9_280 Depth=1
	global_load_dwordx2 v[12:13], v[14:15], off
	v_add_nc_u32_e32 v6, -8, v18
.LBB9_304:                              ;   in Loop: Header=BB9_280 Depth=1
	s_or_b32 exec_lo, exec_lo, s4
	v_add_co_u32 v18, s4, v16, 8
	v_add_co_ci_u32_e64 v19, null, 0, v17, s4
                                        ; implicit-def: $vgpr14_vgpr15
	s_mov_b32 s4, exec_lo
	v_cmpx_gt_u32_e32 8, v6
	s_xor_b32 s12, exec_lo, s4
	s_cbranch_execz .LBB9_310
; %bb.305:                              ;   in Loop: Header=BB9_280 Depth=1
	v_mov_b32_e32 v14, 0
	v_mov_b32_e32 v15, 0
	s_mov_b32 s13, exec_lo
	v_cmpx_ne_u32_e32 0, v6
	s_cbranch_execz .LBB9_309
; %bb.306:                              ;   in Loop: Header=BB9_280 Depth=1
	v_mov_b32_e32 v14, 0
	v_mov_b32_e32 v15, 0
	s_mov_b64 s[4:5], 0
	s_mov_b32 s17, 0
	s_mov_b64 s[10:11], 0
	.p2align	6
.LBB9_307:                              ;   Parent Loop BB9_280 Depth=1
                                        ; =>  This Inner Loop Header: Depth=2
	v_add_co_u32 v18, vcc_lo, v16, s10
	v_add_co_ci_u32_e64 v19, null, s11, v17, vcc_lo
	s_add_u32 s10, s10, 1
	s_addc_u32 s11, s11, 0
	v_cmp_eq_u32_e32 vcc_lo, s10, v6
	global_load_ubyte v18, v[18:19], off
	v_mov_b32_e32 v19, s16
	s_waitcnt vmcnt(0)
	v_and_b32_e32 v18, 0xffff, v18
	v_lshlrev_b64 v[18:19], s4, v[18:19]
	s_add_u32 s4, s4, 8
	s_addc_u32 s5, s5, 0
	s_or_b32 s17, vcc_lo, s17
	v_or_b32_e32 v15, v19, v15
	v_or_b32_e32 v14, v18, v14
	s_andn2_b32 exec_lo, exec_lo, s17
	s_cbranch_execnz .LBB9_307
; %bb.308:                              ;   in Loop: Header=BB9_280 Depth=1
	s_or_b32 exec_lo, exec_lo, s17
.LBB9_309:                              ;   in Loop: Header=BB9_280 Depth=1
	s_or_b32 exec_lo, exec_lo, s13
	v_mov_b32_e32 v19, v17
	v_mov_b32_e32 v18, v16
                                        ; implicit-def: $vgpr6
.LBB9_310:                              ;   in Loop: Header=BB9_280 Depth=1
	s_or_saveexec_b32 s4, s12
	v_mov_b32_e32 v22, 0
	s_xor_b32 exec_lo, exec_lo, s4
	s_cbranch_execz .LBB9_312
; %bb.311:                              ;   in Loop: Header=BB9_280 Depth=1
	global_load_dwordx2 v[14:15], v[16:17], off
	v_add_nc_u32_e32 v22, -8, v6
.LBB9_312:                              ;   in Loop: Header=BB9_280 Depth=1
	s_or_b32 exec_lo, exec_lo, s4
	v_add_co_u32 v20, s4, v18, 8
	v_add_co_ci_u32_e64 v21, null, 0, v19, s4
	s_mov_b32 s4, exec_lo
	v_cmpx_gt_u32_e32 8, v22
	s_xor_b32 s12, exec_lo, s4
	s_cbranch_execz .LBB9_318
; %bb.313:                              ;   in Loop: Header=BB9_280 Depth=1
	v_mov_b32_e32 v16, 0
	v_mov_b32_e32 v17, 0
	s_mov_b32 s13, exec_lo
	v_cmpx_ne_u32_e32 0, v22
	s_cbranch_execz .LBB9_317
; %bb.314:                              ;   in Loop: Header=BB9_280 Depth=1
	v_mov_b32_e32 v16, 0
	v_mov_b32_e32 v17, 0
	s_mov_b64 s[4:5], 0
	s_mov_b32 s17, 0
	s_mov_b64 s[10:11], 0
	.p2align	6
.LBB9_315:                              ;   Parent Loop BB9_280 Depth=1
                                        ; =>  This Inner Loop Header: Depth=2
	v_add_co_u32 v20, vcc_lo, v18, s10
	v_add_co_ci_u32_e64 v21, null, s11, v19, vcc_lo
	s_add_u32 s10, s10, 1
	s_addc_u32 s11, s11, 0
	v_cmp_eq_u32_e32 vcc_lo, s10, v22
	global_load_ubyte v6, v[20:21], off
	v_mov_b32_e32 v21, s16
	s_waitcnt vmcnt(0)
	v_and_b32_e32 v20, 0xffff, v6
	v_lshlrev_b64 v[20:21], s4, v[20:21]
	s_add_u32 s4, s4, 8
	s_addc_u32 s5, s5, 0
	s_or_b32 s17, vcc_lo, s17
	v_or_b32_e32 v17, v21, v17
	v_or_b32_e32 v16, v20, v16
	s_andn2_b32 exec_lo, exec_lo, s17
	s_cbranch_execnz .LBB9_315
; %bb.316:                              ;   in Loop: Header=BB9_280 Depth=1
	s_or_b32 exec_lo, exec_lo, s17
.LBB9_317:                              ;   in Loop: Header=BB9_280 Depth=1
	s_or_b32 exec_lo, exec_lo, s13
	v_mov_b32_e32 v21, v19
	v_mov_b32_e32 v20, v18
                                        ; implicit-def: $vgpr22
.LBB9_318:                              ;   in Loop: Header=BB9_280 Depth=1
	s_or_saveexec_b32 s4, s12
	v_mov_b32_e32 v6, 0
	s_xor_b32 exec_lo, exec_lo, s4
	s_cbranch_execz .LBB9_320
; %bb.319:                              ;   in Loop: Header=BB9_280 Depth=1
	global_load_dwordx2 v[16:17], v[18:19], off
	v_add_nc_u32_e32 v6, -8, v22
.LBB9_320:                              ;   in Loop: Header=BB9_280 Depth=1
	s_or_b32 exec_lo, exec_lo, s4
	v_add_co_u32 v22, s4, v20, 8
	v_add_co_ci_u32_e64 v23, null, 0, v21, s4
                                        ; implicit-def: $vgpr18_vgpr19
	s_mov_b32 s4, exec_lo
	v_cmpx_gt_u32_e32 8, v6
	s_xor_b32 s12, exec_lo, s4
	s_cbranch_execz .LBB9_326
; %bb.321:                              ;   in Loop: Header=BB9_280 Depth=1
	v_mov_b32_e32 v18, 0
	v_mov_b32_e32 v19, 0
	s_mov_b32 s13, exec_lo
	v_cmpx_ne_u32_e32 0, v6
	s_cbranch_execz .LBB9_325
; %bb.322:                              ;   in Loop: Header=BB9_280 Depth=1
	v_mov_b32_e32 v18, 0
	v_mov_b32_e32 v19, 0
	s_mov_b64 s[4:5], 0
	s_mov_b32 s17, 0
	s_mov_b64 s[10:11], 0
	.p2align	6
.LBB9_323:                              ;   Parent Loop BB9_280 Depth=1
                                        ; =>  This Inner Loop Header: Depth=2
	v_add_co_u32 v22, vcc_lo, v20, s10
	v_add_co_ci_u32_e64 v23, null, s11, v21, vcc_lo
	s_add_u32 s10, s10, 1
	s_addc_u32 s11, s11, 0
	v_cmp_eq_u32_e32 vcc_lo, s10, v6
	global_load_ubyte v22, v[22:23], off
	v_mov_b32_e32 v23, s16
	s_waitcnt vmcnt(0)
	v_and_b32_e32 v22, 0xffff, v22
	v_lshlrev_b64 v[22:23], s4, v[22:23]
	s_add_u32 s4, s4, 8
	s_addc_u32 s5, s5, 0
	s_or_b32 s17, vcc_lo, s17
	v_or_b32_e32 v19, v23, v19
	v_or_b32_e32 v18, v22, v18
	s_andn2_b32 exec_lo, exec_lo, s17
	s_cbranch_execnz .LBB9_323
; %bb.324:                              ;   in Loop: Header=BB9_280 Depth=1
	s_or_b32 exec_lo, exec_lo, s17
.LBB9_325:                              ;   in Loop: Header=BB9_280 Depth=1
	s_or_b32 exec_lo, exec_lo, s13
	v_mov_b32_e32 v23, v21
	v_mov_b32_e32 v22, v20
                                        ; implicit-def: $vgpr6
.LBB9_326:                              ;   in Loop: Header=BB9_280 Depth=1
	s_or_saveexec_b32 s4, s12
	v_mov_b32_e32 v24, 0
	s_xor_b32 exec_lo, exec_lo, s4
	s_cbranch_execz .LBB9_328
; %bb.327:                              ;   in Loop: Header=BB9_280 Depth=1
	global_load_dwordx2 v[18:19], v[20:21], off
	v_add_nc_u32_e32 v24, -8, v6
.LBB9_328:                              ;   in Loop: Header=BB9_280 Depth=1
	s_or_b32 exec_lo, exec_lo, s4
	s_mov_b32 s4, exec_lo
	v_cmpx_gt_u32_e32 8, v24
	s_xor_b32 s10, exec_lo, s4
	s_cbranch_execz .LBB9_334
; %bb.329:                              ;   in Loop: Header=BB9_280 Depth=1
	v_mov_b32_e32 v20, 0
	v_mov_b32_e32 v21, 0
	s_mov_b32 s11, exec_lo
	v_cmpx_ne_u32_e32 0, v24
	s_cbranch_execz .LBB9_333
; %bb.330:                              ;   in Loop: Header=BB9_280 Depth=1
	v_mov_b32_e32 v20, 0
	v_mov_b32_e32 v21, 0
	s_mov_b64 s[4:5], 0
	s_mov_b32 s12, 0
	.p2align	6
.LBB9_331:                              ;   Parent Loop BB9_280 Depth=1
                                        ; =>  This Inner Loop Header: Depth=2
	global_load_ubyte v6, v[22:23], off
	v_mov_b32_e32 v31, s16
	v_add_nc_u32_e32 v24, -1, v24
	v_add_co_u32 v22, vcc_lo, v22, 1
	v_add_co_ci_u32_e64 v23, null, 0, v23, vcc_lo
	v_cmp_eq_u32_e32 vcc_lo, 0, v24
	s_waitcnt vmcnt(0)
	v_and_b32_e32 v30, 0xffff, v6
	v_lshlrev_b64 v[30:31], s4, v[30:31]
	s_add_u32 s4, s4, 8
	s_addc_u32 s5, s5, 0
	s_or_b32 s12, vcc_lo, s12
	v_or_b32_e32 v21, v31, v21
	v_or_b32_e32 v20, v30, v20
	s_andn2_b32 exec_lo, exec_lo, s12
	s_cbranch_execnz .LBB9_331
; %bb.332:                              ;   in Loop: Header=BB9_280 Depth=1
	s_or_b32 exec_lo, exec_lo, s12
.LBB9_333:                              ;   in Loop: Header=BB9_280 Depth=1
	s_or_b32 exec_lo, exec_lo, s11
                                        ; implicit-def: $vgpr22_vgpr23
.LBB9_334:                              ;   in Loop: Header=BB9_280 Depth=1
	s_andn2_saveexec_b32 s4, s10
	s_cbranch_execz .LBB9_336
; %bb.335:                              ;   in Loop: Header=BB9_280 Depth=1
	global_load_dwordx2 v[20:21], v[22:23], off
.LBB9_336:                              ;   in Loop: Header=BB9_280 Depth=1
	s_or_b32 exec_lo, exec_lo, s4
	v_readfirstlane_b32 s4, v34
	v_mov_b32_e32 v30, 0
	v_mov_b32_e32 v31, 0
	v_cmp_eq_u32_e64 s4, s4, v34
	s_and_saveexec_b32 s5, s4
	s_cbranch_execz .LBB9_342
; %bb.337:                              ;   in Loop: Header=BB9_280 Depth=1
	global_load_dwordx2 v[24:25], v7, s[6:7] offset:24 glc dlc
	s_waitcnt vmcnt(0)
	buffer_gl1_inv
	buffer_gl0_inv
	s_clause 0x1
	global_load_dwordx2 v[22:23], v7, s[6:7] offset:40
	global_load_dwordx2 v[30:31], v7, s[6:7]
	s_mov_b32 s10, exec_lo
	s_waitcnt vmcnt(1)
	v_and_b32_e32 v6, v23, v25
	v_and_b32_e32 v22, v22, v24
	v_mul_lo_u32 v6, v6, 24
	v_mul_hi_u32 v23, v22, 24
	v_mul_lo_u32 v22, v22, 24
	v_add_nc_u32_e32 v6, v23, v6
	s_waitcnt vmcnt(0)
	v_add_co_u32 v22, vcc_lo, v30, v22
	v_add_co_ci_u32_e64 v23, null, v31, v6, vcc_lo
	global_load_dwordx2 v[22:23], v[22:23], off glc dlc
	s_waitcnt vmcnt(0)
	global_atomic_cmpswap_x2 v[30:31], v7, v[22:25], s[6:7] offset:24 glc
	s_waitcnt vmcnt(0)
	buffer_gl1_inv
	buffer_gl0_inv
	v_cmpx_ne_u64_e64 v[30:31], v[24:25]
	s_cbranch_execz .LBB9_341
; %bb.338:                              ;   in Loop: Header=BB9_280 Depth=1
	s_mov_b32 s11, 0
	.p2align	6
.LBB9_339:                              ;   Parent Loop BB9_280 Depth=1
                                        ; =>  This Inner Loop Header: Depth=2
	s_sleep 1
	s_clause 0x1
	global_load_dwordx2 v[22:23], v7, s[6:7] offset:40
	global_load_dwordx2 v[36:37], v7, s[6:7]
	v_mov_b32_e32 v24, v30
	v_mov_b32_e32 v25, v31
	s_waitcnt vmcnt(1)
	v_and_b32_e32 v6, v22, v24
	v_and_b32_e32 v22, v23, v25
	s_waitcnt vmcnt(0)
	v_mad_u64_u32 v[30:31], null, v6, 24, v[36:37]
	v_mov_b32_e32 v6, v31
	v_mad_u64_u32 v[22:23], null, v22, 24, v[6:7]
	v_mov_b32_e32 v31, v22
	global_load_dwordx2 v[22:23], v[30:31], off glc dlc
	s_waitcnt vmcnt(0)
	global_atomic_cmpswap_x2 v[30:31], v7, v[22:25], s[6:7] offset:24 glc
	s_waitcnt vmcnt(0)
	buffer_gl1_inv
	buffer_gl0_inv
	v_cmp_eq_u64_e32 vcc_lo, v[30:31], v[24:25]
	s_or_b32 s11, vcc_lo, s11
	s_andn2_b32 exec_lo, exec_lo, s11
	s_cbranch_execnz .LBB9_339
; %bb.340:                              ;   in Loop: Header=BB9_280 Depth=1
	s_or_b32 exec_lo, exec_lo, s11
.LBB9_341:                              ;   in Loop: Header=BB9_280 Depth=1
	s_or_b32 exec_lo, exec_lo, s10
.LBB9_342:                              ;   in Loop: Header=BB9_280 Depth=1
	s_or_b32 exec_lo, exec_lo, s5
	s_clause 0x1
	global_load_dwordx2 v[36:37], v7, s[6:7] offset:40
	global_load_dwordx4 v[22:25], v7, s[6:7]
	v_readfirstlane_b32 s11, v31
	v_readfirstlane_b32 s10, v30
	s_mov_b32 s5, exec_lo
	s_waitcnt vmcnt(1)
	v_readfirstlane_b32 s12, v36
	v_readfirstlane_b32 s13, v37
	s_and_b64 s[12:13], s[12:13], s[10:11]
	s_mul_i32 s17, s13, 24
	s_mul_hi_u32 s18, s12, 24
	s_mul_i32 s19, s12, 24
	s_add_i32 s18, s18, s17
	s_waitcnt vmcnt(0)
	v_add_co_u32 v30, vcc_lo, v22, s19
	v_add_co_ci_u32_e64 v31, null, s18, v23, vcc_lo
	s_and_saveexec_b32 s17, s4
	s_cbranch_execz .LBB9_344
; %bb.343:                              ;   in Loop: Header=BB9_280 Depth=1
	v_mov_b32_e32 v6, s5
	global_store_dwordx4 v[30:31], v[6:9], off offset:8
.LBB9_344:                              ;   in Loop: Header=BB9_280 Depth=1
	s_or_b32 exec_lo, exec_lo, s17
	v_cmp_gt_u64_e32 vcc_lo, 57, v[26:27]
	s_lshl_b64 s[12:13], s[12:13], 12
	v_and_b32_e32 v0, 0xffffff1f, v0
	v_lshl_add_u32 v33, v28, 2, 28
	v_cndmask_b32_e32 v6, 0, v32, vcc_lo
	v_add_co_u32 v24, vcc_lo, v24, s12
	v_add_co_ci_u32_e64 v25, null, s13, v25, vcc_lo
	v_or_b32_e32 v0, v0, v6
	v_readfirstlane_b32 s12, v24
	v_readfirstlane_b32 s13, v25
	v_and_or_b32 v0, 0x1e0, v33, v0
	global_store_dwordx4 v35, v[10:13], s[12:13] offset:16
	global_store_dwordx4 v35, v[14:17], s[12:13] offset:32
	global_store_dwordx4 v35, v[0:3], s[12:13]
	global_store_dwordx4 v35, v[18:21], s[12:13] offset:48
	s_and_saveexec_b32 s5, s4
	s_cbranch_execz .LBB9_352
; %bb.345:                              ;   in Loop: Header=BB9_280 Depth=1
	s_clause 0x1
	global_load_dwordx2 v[14:15], v7, s[6:7] offset:32 glc dlc
	global_load_dwordx2 v[0:1], v7, s[6:7] offset:40
	v_mov_b32_e32 v12, s10
	v_mov_b32_e32 v13, s11
	s_waitcnt vmcnt(0)
	v_readfirstlane_b32 s12, v0
	v_readfirstlane_b32 s13, v1
	s_and_b64 s[12:13], s[12:13], s[10:11]
	s_mul_i32 s13, s13, 24
	s_mul_hi_u32 s17, s12, 24
	s_mul_i32 s12, s12, 24
	s_add_i32 s17, s17, s13
	v_add_co_u32 v10, vcc_lo, v22, s12
	v_add_co_ci_u32_e64 v11, null, s17, v23, vcc_lo
	s_mov_b32 s12, exec_lo
	global_store_dwordx2 v[10:11], v[14:15], off
	s_waitcnt_vscnt null, 0x0
	global_atomic_cmpswap_x2 v[2:3], v7, v[12:15], s[6:7] offset:32 glc
	s_waitcnt vmcnt(0)
	v_cmpx_ne_u64_e64 v[2:3], v[14:15]
	s_cbranch_execz .LBB9_348
; %bb.346:                              ;   in Loop: Header=BB9_280 Depth=1
	s_mov_b32 s13, 0
.LBB9_347:                              ;   Parent Loop BB9_280 Depth=1
                                        ; =>  This Inner Loop Header: Depth=2
	v_mov_b32_e32 v0, s10
	v_mov_b32_e32 v1, s11
	s_sleep 1
	global_store_dwordx2 v[10:11], v[2:3], off
	s_waitcnt_vscnt null, 0x0
	global_atomic_cmpswap_x2 v[0:1], v7, v[0:3], s[6:7] offset:32 glc
	s_waitcnt vmcnt(0)
	v_cmp_eq_u64_e32 vcc_lo, v[0:1], v[2:3]
	v_mov_b32_e32 v3, v1
	v_mov_b32_e32 v2, v0
	s_or_b32 s13, vcc_lo, s13
	s_andn2_b32 exec_lo, exec_lo, s13
	s_cbranch_execnz .LBB9_347
.LBB9_348:                              ;   in Loop: Header=BB9_280 Depth=1
	s_or_b32 exec_lo, exec_lo, s12
	global_load_dwordx2 v[0:1], v7, s[6:7] offset:16
	s_mov_b32 s13, exec_lo
	s_mov_b32 s12, exec_lo
	v_mbcnt_lo_u32_b32 v2, s13, 0
	v_cmpx_eq_u32_e32 0, v2
	s_cbranch_execz .LBB9_350
; %bb.349:                              ;   in Loop: Header=BB9_280 Depth=1
	s_bcnt1_i32_b32 s13, s13
	v_mov_b32_e32 v6, s13
	s_waitcnt vmcnt(0)
	global_atomic_add_x2 v[0:1], v[6:7], off offset:8
.LBB9_350:                              ;   in Loop: Header=BB9_280 Depth=1
	s_or_b32 exec_lo, exec_lo, s12
	s_waitcnt vmcnt(0)
	global_load_dwordx2 v[2:3], v[0:1], off offset:16
	s_waitcnt vmcnt(0)
	v_cmp_eq_u64_e32 vcc_lo, 0, v[2:3]
	s_cbranch_vccnz .LBB9_352
; %bb.351:                              ;   in Loop: Header=BB9_280 Depth=1
	global_load_dword v6, v[0:1], off offset:24
	s_waitcnt vmcnt(0)
	v_readfirstlane_b32 s12, v6
	s_waitcnt_vscnt null, 0x0
	global_store_dwordx2 v[2:3], v[6:7], off
	s_and_b32 m0, s12, 0x7fffff
	s_sendmsg sendmsg(MSG_INTERRUPT)
.LBB9_352:                              ;   in Loop: Header=BB9_280 Depth=1
	s_or_b32 exec_lo, exec_lo, s5
	v_add_co_u32 v0, vcc_lo, v24, v35
	v_add_co_ci_u32_e64 v1, null, 0, v25, vcc_lo
	s_branch .LBB9_356
	.p2align	6
.LBB9_353:                              ;   in Loop: Header=BB9_356 Depth=2
	s_or_b32 exec_lo, exec_lo, s5
	v_readfirstlane_b32 s5, v2
	s_cmp_eq_u32 s5, 0
	s_cbranch_scc1 .LBB9_355
; %bb.354:                              ;   in Loop: Header=BB9_356 Depth=2
	s_sleep 1
	s_cbranch_execnz .LBB9_356
	s_branch .LBB9_358
	.p2align	6
.LBB9_355:                              ;   in Loop: Header=BB9_280 Depth=1
	s_branch .LBB9_358
.LBB9_356:                              ;   Parent Loop BB9_280 Depth=1
                                        ; =>  This Inner Loop Header: Depth=2
	v_mov_b32_e32 v2, 1
	s_and_saveexec_b32 s5, s4
	s_cbranch_execz .LBB9_353
; %bb.357:                              ;   in Loop: Header=BB9_356 Depth=2
	global_load_dword v2, v[30:31], off offset:20 glc dlc
	s_waitcnt vmcnt(0)
	buffer_gl1_inv
	buffer_gl0_inv
	v_and_b32_e32 v2, 1, v2
	s_branch .LBB9_353
.LBB9_358:                              ;   in Loop: Header=BB9_280 Depth=1
	global_load_dwordx2 v[0:1], v[0:1], off
	s_and_saveexec_b32 s12, s4
	s_cbranch_execz .LBB9_279
; %bb.359:                              ;   in Loop: Header=BB9_280 Depth=1
	s_clause 0x2
	global_load_dwordx2 v[2:3], v7, s[6:7] offset:40
	global_load_dwordx2 v[14:15], v7, s[6:7] offset:24 glc dlc
	global_load_dwordx2 v[10:11], v7, s[6:7]
	s_waitcnt vmcnt(2)
	v_readfirstlane_b32 s18, v2
	v_readfirstlane_b32 s19, v3
	s_add_u32 s13, s18, 1
	s_addc_u32 s17, s19, 0
	s_add_u32 s4, s13, s10
	s_addc_u32 s5, s17, s11
	s_cmp_eq_u64 s[4:5], 0
	s_cselect_b32 s5, s17, s5
	s_cselect_b32 s4, s13, s4
	v_mov_b32_e32 v13, s5
	s_and_b64 s[10:11], s[4:5], s[18:19]
	v_mov_b32_e32 v12, s4
	s_mul_i32 s11, s11, 24
	s_mul_hi_u32 s13, s10, 24
	s_mul_i32 s10, s10, 24
	s_add_i32 s13, s13, s11
	s_waitcnt vmcnt(0)
	v_add_co_u32 v2, vcc_lo, v10, s10
	v_add_co_ci_u32_e64 v3, null, s13, v11, vcc_lo
	global_store_dwordx2 v[2:3], v[14:15], off
	s_waitcnt_vscnt null, 0x0
	global_atomic_cmpswap_x2 v[12:13], v7, v[12:15], s[6:7] offset:24 glc
	s_waitcnt vmcnt(0)
	v_cmp_ne_u64_e32 vcc_lo, v[12:13], v[14:15]
	s_and_b32 exec_lo, exec_lo, vcc_lo
	s_cbranch_execz .LBB9_279
; %bb.360:                              ;   in Loop: Header=BB9_280 Depth=1
	s_mov_b32 s10, 0
.LBB9_361:                              ;   Parent Loop BB9_280 Depth=1
                                        ; =>  This Inner Loop Header: Depth=2
	v_mov_b32_e32 v10, s4
	v_mov_b32_e32 v11, s5
	s_sleep 1
	global_store_dwordx2 v[2:3], v[12:13], off
	s_waitcnt_vscnt null, 0x0
	global_atomic_cmpswap_x2 v[10:11], v7, v[10:13], s[6:7] offset:24 glc
	s_waitcnt vmcnt(0)
	v_cmp_eq_u64_e32 vcc_lo, v[10:11], v[12:13]
	v_mov_b32_e32 v13, v11
	v_mov_b32_e32 v12, v10
	s_or_b32 s10, vcc_lo, s10
	s_andn2_b32 exec_lo, exec_lo, s10
	s_cbranch_execnz .LBB9_361
	s_branch .LBB9_279
.LBB9_362:
	s_or_b32 exec_lo, exec_lo, s15
                                        ; implicit-def: $vgpr35
                                        ; implicit-def: $vgpr34
.LBB9_363:
	s_andn2_saveexec_b32 s14, s14
	s_cbranch_execz .LBB9_391
; %bb.364:
	v_readfirstlane_b32 s4, v34
	v_mov_b32_e32 v8, 0
	v_mov_b32_e32 v9, 0
	v_cmp_eq_u32_e64 s4, s4, v34
	s_and_saveexec_b32 s5, s4
	s_cbranch_execz .LBB9_370
; %bb.365:
	v_mov_b32_e32 v2, 0
	s_mov_b32 s10, exec_lo
	global_load_dwordx2 v[5:6], v2, s[6:7] offset:24 glc dlc
	s_waitcnt vmcnt(0)
	buffer_gl1_inv
	buffer_gl0_inv
	s_clause 0x1
	global_load_dwordx2 v[3:4], v2, s[6:7] offset:40
	global_load_dwordx2 v[7:8], v2, s[6:7]
	s_waitcnt vmcnt(1)
	v_and_b32_e32 v4, v4, v6
	v_and_b32_e32 v3, v3, v5
	v_mul_lo_u32 v4, v4, 24
	v_mul_hi_u32 v9, v3, 24
	v_mul_lo_u32 v3, v3, 24
	v_add_nc_u32_e32 v4, v9, v4
	s_waitcnt vmcnt(0)
	v_add_co_u32 v3, vcc_lo, v7, v3
	v_add_co_ci_u32_e64 v4, null, v8, v4, vcc_lo
	global_load_dwordx2 v[3:4], v[3:4], off glc dlc
	s_waitcnt vmcnt(0)
	global_atomic_cmpswap_x2 v[8:9], v2, v[3:6], s[6:7] offset:24 glc
	s_waitcnt vmcnt(0)
	buffer_gl1_inv
	buffer_gl0_inv
	v_cmpx_ne_u64_e64 v[8:9], v[5:6]
	s_cbranch_execz .LBB9_369
; %bb.366:
	s_mov_b32 s11, 0
	.p2align	6
.LBB9_367:                              ; =>This Inner Loop Header: Depth=1
	s_sleep 1
	s_clause 0x1
	global_load_dwordx2 v[3:4], v2, s[6:7] offset:40
	global_load_dwordx2 v[10:11], v2, s[6:7]
	v_mov_b32_e32 v5, v8
	v_mov_b32_e32 v6, v9
	s_waitcnt vmcnt(1)
	v_and_b32_e32 v3, v3, v5
	v_and_b32_e32 v4, v4, v6
	s_waitcnt vmcnt(0)
	v_mad_u64_u32 v[7:8], null, v3, 24, v[10:11]
	v_mov_b32_e32 v3, v8
	v_mad_u64_u32 v[3:4], null, v4, 24, v[3:4]
	v_mov_b32_e32 v8, v3
	global_load_dwordx2 v[3:4], v[7:8], off glc dlc
	s_waitcnt vmcnt(0)
	global_atomic_cmpswap_x2 v[8:9], v2, v[3:6], s[6:7] offset:24 glc
	s_waitcnt vmcnt(0)
	buffer_gl1_inv
	buffer_gl0_inv
	v_cmp_eq_u64_e32 vcc_lo, v[8:9], v[5:6]
	s_or_b32 s11, vcc_lo, s11
	s_andn2_b32 exec_lo, exec_lo, s11
	s_cbranch_execnz .LBB9_367
; %bb.368:
	s_or_b32 exec_lo, exec_lo, s11
.LBB9_369:
	s_or_b32 exec_lo, exec_lo, s10
.LBB9_370:
	s_or_b32 exec_lo, exec_lo, s5
	v_mov_b32_e32 v2, 0
	v_readfirstlane_b32 s11, v9
	v_readfirstlane_b32 s10, v8
	s_mov_b32 s5, exec_lo
	s_clause 0x1
	global_load_dwordx2 v[10:11], v2, s[6:7] offset:40
	global_load_dwordx4 v[4:7], v2, s[6:7]
	s_waitcnt vmcnt(1)
	v_readfirstlane_b32 s12, v10
	v_readfirstlane_b32 s13, v11
	s_and_b64 s[12:13], s[12:13], s[10:11]
	s_mul_i32 s15, s13, 24
	s_mul_hi_u32 s16, s12, 24
	s_mul_i32 s17, s12, 24
	s_add_i32 s16, s16, s15
	s_waitcnt vmcnt(0)
	v_add_co_u32 v8, vcc_lo, v4, s17
	v_add_co_ci_u32_e64 v9, null, s16, v5, vcc_lo
	s_and_saveexec_b32 s15, s4
	s_cbranch_execz .LBB9_372
; %bb.371:
	v_mov_b32_e32 v10, s5
	v_mov_b32_e32 v11, v2
	;; [unrolled: 1-line block ×4, first 2 shown]
	global_store_dwordx4 v[8:9], v[10:13], off offset:8
.LBB9_372:
	s_or_b32 exec_lo, exec_lo, s15
	s_lshl_b64 s[12:13], s[12:13], 12
	s_mov_b32 s16, 0
	v_add_co_u32 v6, vcc_lo, v6, s12
	v_add_co_ci_u32_e64 v7, null, s13, v7, vcc_lo
	s_mov_b32 s17, s16
	v_readfirstlane_b32 s12, v6
	v_add_co_u32 v6, vcc_lo, v6, v35
	s_mov_b32 s18, s16
	s_mov_b32 s19, s16
	v_and_or_b32 v0, 0xffffff1f, v0, 32
	v_mov_b32_e32 v3, v2
	v_readfirstlane_b32 s13, v7
	v_mov_b32_e32 v10, s16
	v_add_co_ci_u32_e64 v7, null, 0, v7, vcc_lo
	v_mov_b32_e32 v11, s17
	v_mov_b32_e32 v12, s18
	;; [unrolled: 1-line block ×3, first 2 shown]
	global_store_dwordx4 v35, v[0:3], s[12:13]
	global_store_dwordx4 v35, v[10:13], s[12:13] offset:16
	global_store_dwordx4 v35, v[10:13], s[12:13] offset:32
	;; [unrolled: 1-line block ×3, first 2 shown]
	s_and_saveexec_b32 s5, s4
	s_cbranch_execz .LBB9_380
; %bb.373:
	v_mov_b32_e32 v10, 0
	v_mov_b32_e32 v11, s10
	;; [unrolled: 1-line block ×3, first 2 shown]
	s_clause 0x1
	global_load_dwordx2 v[13:14], v10, s[6:7] offset:32 glc dlc
	global_load_dwordx2 v[0:1], v10, s[6:7] offset:40
	s_waitcnt vmcnt(0)
	v_readfirstlane_b32 s12, v0
	v_readfirstlane_b32 s13, v1
	s_and_b64 s[12:13], s[12:13], s[10:11]
	s_mul_i32 s13, s13, 24
	s_mul_hi_u32 s15, s12, 24
	s_mul_i32 s12, s12, 24
	s_add_i32 s15, s15, s13
	v_add_co_u32 v4, vcc_lo, v4, s12
	v_add_co_ci_u32_e64 v5, null, s15, v5, vcc_lo
	s_mov_b32 s12, exec_lo
	global_store_dwordx2 v[4:5], v[13:14], off
	s_waitcnt_vscnt null, 0x0
	global_atomic_cmpswap_x2 v[2:3], v10, v[11:14], s[6:7] offset:32 glc
	s_waitcnt vmcnt(0)
	v_cmpx_ne_u64_e64 v[2:3], v[13:14]
	s_cbranch_execz .LBB9_376
; %bb.374:
	s_mov_b32 s13, 0
.LBB9_375:                              ; =>This Inner Loop Header: Depth=1
	v_mov_b32_e32 v0, s10
	v_mov_b32_e32 v1, s11
	s_sleep 1
	global_store_dwordx2 v[4:5], v[2:3], off
	s_waitcnt_vscnt null, 0x0
	global_atomic_cmpswap_x2 v[0:1], v10, v[0:3], s[6:7] offset:32 glc
	s_waitcnt vmcnt(0)
	v_cmp_eq_u64_e32 vcc_lo, v[0:1], v[2:3]
	v_mov_b32_e32 v3, v1
	v_mov_b32_e32 v2, v0
	s_or_b32 s13, vcc_lo, s13
	s_andn2_b32 exec_lo, exec_lo, s13
	s_cbranch_execnz .LBB9_375
.LBB9_376:
	s_or_b32 exec_lo, exec_lo, s12
	v_mov_b32_e32 v3, 0
	s_mov_b32 s13, exec_lo
	s_mov_b32 s12, exec_lo
	v_mbcnt_lo_u32_b32 v2, s13, 0
	global_load_dwordx2 v[0:1], v3, s[6:7] offset:16
	v_cmpx_eq_u32_e32 0, v2
	s_cbranch_execz .LBB9_378
; %bb.377:
	s_bcnt1_i32_b32 s13, s13
	v_mov_b32_e32 v2, s13
	s_waitcnt vmcnt(0)
	global_atomic_add_x2 v[0:1], v[2:3], off offset:8
.LBB9_378:
	s_or_b32 exec_lo, exec_lo, s12
	s_waitcnt vmcnt(0)
	global_load_dwordx2 v[2:3], v[0:1], off offset:16
	s_waitcnt vmcnt(0)
	v_cmp_eq_u64_e32 vcc_lo, 0, v[2:3]
	s_cbranch_vccnz .LBB9_380
; %bb.379:
	global_load_dword v0, v[0:1], off offset:24
	v_mov_b32_e32 v1, 0
	s_waitcnt vmcnt(0)
	v_readfirstlane_b32 s12, v0
	s_waitcnt_vscnt null, 0x0
	global_store_dwordx2 v[2:3], v[0:1], off
	s_and_b32 m0, s12, 0x7fffff
	s_sendmsg sendmsg(MSG_INTERRUPT)
.LBB9_380:
	s_or_b32 exec_lo, exec_lo, s5
	s_branch .LBB9_384
	.p2align	6
.LBB9_381:                              ;   in Loop: Header=BB9_384 Depth=1
	s_or_b32 exec_lo, exec_lo, s5
	v_readfirstlane_b32 s5, v0
	s_cmp_eq_u32 s5, 0
	s_cbranch_scc1 .LBB9_383
; %bb.382:                              ;   in Loop: Header=BB9_384 Depth=1
	s_sleep 1
	s_cbranch_execnz .LBB9_384
	s_branch .LBB9_386
	.p2align	6
.LBB9_383:
	s_branch .LBB9_386
.LBB9_384:                              ; =>This Inner Loop Header: Depth=1
	v_mov_b32_e32 v0, 1
	s_and_saveexec_b32 s5, s4
	s_cbranch_execz .LBB9_381
; %bb.385:                              ;   in Loop: Header=BB9_384 Depth=1
	global_load_dword v0, v[8:9], off offset:20 glc dlc
	s_waitcnt vmcnt(0)
	buffer_gl1_inv
	buffer_gl0_inv
	v_and_b32_e32 v0, 1, v0
	s_branch .LBB9_381
.LBB9_386:
	global_load_dwordx2 v[0:1], v[6:7], off
	s_and_saveexec_b32 s12, s4
	s_cbranch_execz .LBB9_390
; %bb.387:
	v_mov_b32_e32 v8, 0
	s_clause 0x2
	global_load_dwordx2 v[2:3], v8, s[6:7] offset:40
	global_load_dwordx2 v[11:12], v8, s[6:7] offset:24 glc dlc
	global_load_dwordx2 v[4:5], v8, s[6:7]
	s_waitcnt vmcnt(2)
	v_readfirstlane_b32 s16, v2
	v_readfirstlane_b32 s17, v3
	s_add_u32 s13, s16, 1
	s_addc_u32 s15, s17, 0
	s_add_u32 s4, s13, s10
	s_addc_u32 s5, s15, s11
	s_cmp_eq_u64 s[4:5], 0
	s_cselect_b32 s5, s15, s5
	s_cselect_b32 s4, s13, s4
	v_mov_b32_e32 v10, s5
	s_and_b64 s[10:11], s[4:5], s[16:17]
	v_mov_b32_e32 v9, s4
	s_mul_i32 s11, s11, 24
	s_mul_hi_u32 s13, s10, 24
	s_mul_i32 s10, s10, 24
	s_add_i32 s13, s13, s11
	s_waitcnt vmcnt(0)
	v_add_co_u32 v6, vcc_lo, v4, s10
	v_add_co_ci_u32_e64 v7, null, s13, v5, vcc_lo
	global_store_dwordx2 v[6:7], v[11:12], off
	s_waitcnt_vscnt null, 0x0
	global_atomic_cmpswap_x2 v[4:5], v8, v[9:12], s[6:7] offset:24 glc
	s_waitcnt vmcnt(0)
	v_cmp_ne_u64_e32 vcc_lo, v[4:5], v[11:12]
	s_and_b32 exec_lo, exec_lo, vcc_lo
	s_cbranch_execz .LBB9_390
; %bb.388:
	s_mov_b32 s10, 0
.LBB9_389:                              ; =>This Inner Loop Header: Depth=1
	v_mov_b32_e32 v2, s4
	v_mov_b32_e32 v3, s5
	s_sleep 1
	global_store_dwordx2 v[6:7], v[4:5], off
	s_waitcnt_vscnt null, 0x0
	global_atomic_cmpswap_x2 v[2:3], v8, v[2:5], s[6:7] offset:24 glc
	s_waitcnt vmcnt(0)
	v_cmp_eq_u64_e32 vcc_lo, v[2:3], v[4:5]
	v_mov_b32_e32 v5, v3
	v_mov_b32_e32 v4, v2
	s_or_b32 s10, vcc_lo, s10
	s_andn2_b32 exec_lo, exec_lo, s10
	s_cbranch_execnz .LBB9_389
.LBB9_390:
	s_or_b32 exec_lo, exec_lo, s12
.LBB9_391:
	s_or_b32 exec_lo, exec_lo, s14
	s_getpc_b64 s[4:5]
	s_add_u32 s4, s4, .str.3@rel32@lo+4
	s_addc_u32 s5, s5, .str.3@rel32@hi+12
	s_getpc_b64 s[6:7]
	s_add_u32 s6, s6, .str.3@rel32@lo+10
	s_addc_u32 s7, s7, .str.3@rel32@hi+18
	s_sub_i32 s10, s6, s4
	s_getpc_b64 s[6:7]
	s_add_u32 s6, s6, __ockl_fprintf_append_string_n@rel32@lo+4
	s_addc_u32 s7, s7, __ockl_fprintf_append_string_n@rel32@hi+12
	s_ashr_i32 s11, s10, 31
	v_mov_b32_e32 v2, s4
	v_mov_b32_e32 v3, s5
	;; [unrolled: 1-line block ×5, first 2 shown]
	s_swappc_b64 s[30:31], s[6:7]
	s_trap 2
.Lfunc_end9:
	.size	__assert_fail, .Lfunc_end9-__assert_fail
                                        ; -- End function
	.set .L__assert_fail.num_vgpr, max(41, .L__ockl_fprintf_append_string_n.num_vgpr)
	.set .L__assert_fail.num_agpr, max(0, .L__ockl_fprintf_append_string_n.num_agpr)
	.set .L__assert_fail.numbered_sgpr, max(34, .L__ockl_fprintf_append_string_n.numbered_sgpr)
	.set .L__assert_fail.num_named_barrier, max(0, .L__ockl_fprintf_append_string_n.num_named_barrier)
	.set .L__assert_fail.private_seg_size, 64+max(.L__ockl_fprintf_append_string_n.private_seg_size)
	.set .L__assert_fail.uses_vcc, or(1, .L__ockl_fprintf_append_string_n.uses_vcc)
	.set .L__assert_fail.uses_flat_scratch, or(0, .L__ockl_fprintf_append_string_n.uses_flat_scratch)
	.set .L__assert_fail.has_dyn_sized_stack, or(0, .L__ockl_fprintf_append_string_n.has_dyn_sized_stack)
	.set .L__assert_fail.has_recursion, or(0, .L__ockl_fprintf_append_string_n.has_recursion)
	.set .L__assert_fail.has_indirect_call, or(0, .L__ockl_fprintf_append_string_n.has_indirect_call)
	.section	.AMDGPU.csdata,"",@progbits
; Function info:
; codeLenInByte = 15432
; TotalNumSgprs: 36
; NumVgprs: 41
; ScratchSize: 64
; MemoryBound: 0
	.section	.text._Z16wvSplitK_hf_sml_I6__halfLi64ELi2ELi16ELi8ELi2ELi1EEviiPKT_S3_PS1_ii,"axG",@progbits,_Z16wvSplitK_hf_sml_I6__halfLi64ELi2ELi16ELi8ELi2ELi1EEviiPKT_S3_PS1_ii,comdat
	.protected	_Z16wvSplitK_hf_sml_I6__halfLi64ELi2ELi16ELi8ELi2ELi1EEviiPKT_S3_PS1_ii ; -- Begin function _Z16wvSplitK_hf_sml_I6__halfLi64ELi2ELi16ELi8ELi2ELi1EEviiPKT_S3_PS1_ii
	.globl	_Z16wvSplitK_hf_sml_I6__halfLi64ELi2ELi16ELi8ELi2ELi1EEviiPKT_S3_PS1_ii
	.p2align	8
	.type	_Z16wvSplitK_hf_sml_I6__halfLi64ELi2ELi16ELi8ELi2ELi1EEviiPKT_S3_PS1_ii,@function
_Z16wvSplitK_hf_sml_I6__halfLi64ELi2ELi16ELi8ELi2ELi1EEviiPKT_S3_PS1_ii: ; @_Z16wvSplitK_hf_sml_I6__halfLi64ELi2ELi16ELi8ELi2ELi1EEviiPKT_S3_PS1_ii
; %bb.0:
	s_add_u32 s6, s6, s9
	s_mov_b32 s32, 0
	s_addc_u32 s7, s7, 0
	s_setreg_b32 hwreg(HW_REG_FLAT_SCR_LO), s6
	s_setreg_b32 hwreg(HW_REG_FLAT_SCR_HI), s7
	s_add_u32 s0, s0, s9
	s_addc_u32 s1, s1, 0
	s_add_u32 s8, s4, 40
	s_addc_u32 s9, s5, 0
	s_getpc_b64 s[4:5]
	s_add_u32 s4, s4, __PRETTY_FUNCTION__._Z16wvSplitK_hf_sml_I6__halfLi64ELi2ELi16ELi8ELi2ELi1EEviiPKT_S3_PS1_ii@rel32@lo+4
	s_addc_u32 s5, s5, __PRETTY_FUNCTION__._Z16wvSplitK_hf_sml_I6__halfLi64ELi2ELi16ELi8ELi2ELi1EEviiPKT_S3_PS1_ii@rel32@hi+12
	v_mov_b32_e32 v0, 0x224
	v_mov_b32_e32 v1, s4
	;; [unrolled: 1-line block ×3, first 2 shown]
	s_getpc_b64 s[6:7]
	s_add_u32 s6, s6, __assert_fail@rel32@lo+4
	s_addc_u32 s7, s7, __assert_fail@rel32@hi+12
	s_swappc_b64 s[30:31], s[6:7]
	.section	.rodata,"a",@progbits
	.p2align	6, 0x0
	.amdhsa_kernel _Z16wvSplitK_hf_sml_I6__halfLi64ELi2ELi16ELi8ELi2ELi1EEviiPKT_S3_PS1_ii
		.amdhsa_group_segment_fixed_size 0
		.amdhsa_private_segment_fixed_size 64
		.amdhsa_kernarg_size 296
		.amdhsa_user_sgpr_count 8
		.amdhsa_user_sgpr_private_segment_buffer 1
		.amdhsa_user_sgpr_dispatch_ptr 0
		.amdhsa_user_sgpr_queue_ptr 0
		.amdhsa_user_sgpr_kernarg_segment_ptr 1
		.amdhsa_user_sgpr_dispatch_id 0
		.amdhsa_user_sgpr_flat_scratch_init 1
		.amdhsa_user_sgpr_private_segment_size 0
		.amdhsa_wavefront_size32 1
		.amdhsa_uses_dynamic_stack 0
		.amdhsa_system_sgpr_private_segment_wavefront_offset 1
		.amdhsa_system_sgpr_workgroup_id_x 1
		.amdhsa_system_sgpr_workgroup_id_y 0
		.amdhsa_system_sgpr_workgroup_id_z 0
		.amdhsa_system_sgpr_workgroup_info 0
		.amdhsa_system_vgpr_workitem_id 0
		.amdhsa_next_free_vgpr 41
		.amdhsa_next_free_sgpr 34
		.amdhsa_reserve_vcc 1
		.amdhsa_reserve_flat_scratch 1
		.amdhsa_float_round_mode_32 0
		.amdhsa_float_round_mode_16_64 0
		.amdhsa_float_denorm_mode_32 3
		.amdhsa_float_denorm_mode_16_64 3
		.amdhsa_dx10_clamp 1
		.amdhsa_ieee_mode 1
		.amdhsa_fp16_overflow 0
		.amdhsa_workgroup_processor_mode 1
		.amdhsa_memory_ordered 1
		.amdhsa_forward_progress 1
		.amdhsa_shared_vgpr_count 0
		.amdhsa_exception_fp_ieee_invalid_op 0
		.amdhsa_exception_fp_denorm_src 0
		.amdhsa_exception_fp_ieee_div_zero 0
		.amdhsa_exception_fp_ieee_overflow 0
		.amdhsa_exception_fp_ieee_underflow 0
		.amdhsa_exception_fp_ieee_inexact 0
		.amdhsa_exception_int_div_zero 0
	.end_amdhsa_kernel
	.section	.text._Z16wvSplitK_hf_sml_I6__halfLi64ELi2ELi16ELi8ELi2ELi1EEviiPKT_S3_PS1_ii,"axG",@progbits,_Z16wvSplitK_hf_sml_I6__halfLi64ELi2ELi16ELi8ELi2ELi1EEviiPKT_S3_PS1_ii,comdat
.Lfunc_end10:
	.size	_Z16wvSplitK_hf_sml_I6__halfLi64ELi2ELi16ELi8ELi2ELi1EEviiPKT_S3_PS1_ii, .Lfunc_end10-_Z16wvSplitK_hf_sml_I6__halfLi64ELi2ELi16ELi8ELi2ELi1EEviiPKT_S3_PS1_ii
                                        ; -- End function
	.set _Z16wvSplitK_hf_sml_I6__halfLi64ELi2ELi16ELi8ELi2ELi1EEviiPKT_S3_PS1_ii.num_vgpr, max(3, .L__assert_fail.num_vgpr)
	.set _Z16wvSplitK_hf_sml_I6__halfLi64ELi2ELi16ELi8ELi2ELi1EEviiPKT_S3_PS1_ii.num_agpr, max(0, .L__assert_fail.num_agpr)
	.set _Z16wvSplitK_hf_sml_I6__halfLi64ELi2ELi16ELi8ELi2ELi1EEviiPKT_S3_PS1_ii.numbered_sgpr, max(33, .L__assert_fail.numbered_sgpr)
	.set _Z16wvSplitK_hf_sml_I6__halfLi64ELi2ELi16ELi8ELi2ELi1EEviiPKT_S3_PS1_ii.num_named_barrier, max(0, .L__assert_fail.num_named_barrier)
	.set _Z16wvSplitK_hf_sml_I6__halfLi64ELi2ELi16ELi8ELi2ELi1EEviiPKT_S3_PS1_ii.private_seg_size, 0+max(.L__assert_fail.private_seg_size)
	.set _Z16wvSplitK_hf_sml_I6__halfLi64ELi2ELi16ELi8ELi2ELi1EEviiPKT_S3_PS1_ii.uses_vcc, or(1, .L__assert_fail.uses_vcc)
	.set _Z16wvSplitK_hf_sml_I6__halfLi64ELi2ELi16ELi8ELi2ELi1EEviiPKT_S3_PS1_ii.uses_flat_scratch, or(1, .L__assert_fail.uses_flat_scratch)
	.set _Z16wvSplitK_hf_sml_I6__halfLi64ELi2ELi16ELi8ELi2ELi1EEviiPKT_S3_PS1_ii.has_dyn_sized_stack, or(0, .L__assert_fail.has_dyn_sized_stack)
	.set _Z16wvSplitK_hf_sml_I6__halfLi64ELi2ELi16ELi8ELi2ELi1EEviiPKT_S3_PS1_ii.has_recursion, or(0, .L__assert_fail.has_recursion)
	.set _Z16wvSplitK_hf_sml_I6__halfLi64ELi2ELi16ELi8ELi2ELi1EEviiPKT_S3_PS1_ii.has_indirect_call, or(0, .L__assert_fail.has_indirect_call)
	.section	.AMDGPU.csdata,"",@progbits
; Kernel info:
; codeLenInByte = 96
; TotalNumSgprs: 36
; NumVgprs: 41
; ScratchSize: 64
; MemoryBound: 0
; FloatMode: 240
; IeeeMode: 1
; LDSByteSize: 0 bytes/workgroup (compile time only)
; SGPRBlocks: 0
; VGPRBlocks: 5
; NumSGPRsForWavesPerEU: 36
; NumVGPRsForWavesPerEU: 41
; Occupancy: 16
; WaveLimiterHint : 1
; COMPUTE_PGM_RSRC2:SCRATCH_EN: 1
; COMPUTE_PGM_RSRC2:USER_SGPR: 8
; COMPUTE_PGM_RSRC2:TRAP_HANDLER: 0
; COMPUTE_PGM_RSRC2:TGID_X_EN: 1
; COMPUTE_PGM_RSRC2:TGID_Y_EN: 0
; COMPUTE_PGM_RSRC2:TGID_Z_EN: 0
; COMPUTE_PGM_RSRC2:TIDIG_COMP_CNT: 0
	.section	.text._Z12wvSplitK_hf_I6__halfLi64ELi2ELi16ELi8ELi2ELi1EEviiPKT_S3_PS1_ii,"axG",@progbits,_Z12wvSplitK_hf_I6__halfLi64ELi2ELi16ELi8ELi2ELi1EEviiPKT_S3_PS1_ii,comdat
	.protected	_Z12wvSplitK_hf_I6__halfLi64ELi2ELi16ELi8ELi2ELi1EEviiPKT_S3_PS1_ii ; -- Begin function _Z12wvSplitK_hf_I6__halfLi64ELi2ELi16ELi8ELi2ELi1EEviiPKT_S3_PS1_ii
	.globl	_Z12wvSplitK_hf_I6__halfLi64ELi2ELi16ELi8ELi2ELi1EEviiPKT_S3_PS1_ii
	.p2align	8
	.type	_Z12wvSplitK_hf_I6__halfLi64ELi2ELi16ELi8ELi2ELi1EEviiPKT_S3_PS1_ii,@function
_Z12wvSplitK_hf_I6__halfLi64ELi2ELi16ELi8ELi2ELi1EEviiPKT_S3_PS1_ii: ; @_Z12wvSplitK_hf_I6__halfLi64ELi2ELi16ELi8ELi2ELi1EEviiPKT_S3_PS1_ii
; %bb.0:
	s_add_u32 s6, s6, s9
	s_mov_b32 s32, 0
	s_addc_u32 s7, s7, 0
	s_setreg_b32 hwreg(HW_REG_FLAT_SCR_LO), s6
	s_setreg_b32 hwreg(HW_REG_FLAT_SCR_HI), s7
	s_add_u32 s0, s0, s9
	s_addc_u32 s1, s1, 0
	s_add_u32 s8, s4, 40
	s_addc_u32 s9, s5, 0
	s_getpc_b64 s[4:5]
	s_add_u32 s4, s4, __PRETTY_FUNCTION__._Z12wvSplitK_hf_I6__halfLi64ELi2ELi16ELi8ELi2ELi1EEviiPKT_S3_PS1_ii@rel32@lo+4
	s_addc_u32 s5, s5, __PRETTY_FUNCTION__._Z12wvSplitK_hf_I6__halfLi64ELi2ELi16ELi8ELi2ELi1EEviiPKT_S3_PS1_ii@rel32@hi+12
	v_mov_b32_e32 v0, 0x351
	v_mov_b32_e32 v1, s4
	;; [unrolled: 1-line block ×3, first 2 shown]
	s_getpc_b64 s[6:7]
	s_add_u32 s6, s6, __assert_fail@rel32@lo+4
	s_addc_u32 s7, s7, __assert_fail@rel32@hi+12
	s_swappc_b64 s[30:31], s[6:7]
	.section	.rodata,"a",@progbits
	.p2align	6, 0x0
	.amdhsa_kernel _Z12wvSplitK_hf_I6__halfLi64ELi2ELi16ELi8ELi2ELi1EEviiPKT_S3_PS1_ii
		.amdhsa_group_segment_fixed_size 0
		.amdhsa_private_segment_fixed_size 64
		.amdhsa_kernarg_size 296
		.amdhsa_user_sgpr_count 8
		.amdhsa_user_sgpr_private_segment_buffer 1
		.amdhsa_user_sgpr_dispatch_ptr 0
		.amdhsa_user_sgpr_queue_ptr 0
		.amdhsa_user_sgpr_kernarg_segment_ptr 1
		.amdhsa_user_sgpr_dispatch_id 0
		.amdhsa_user_sgpr_flat_scratch_init 1
		.amdhsa_user_sgpr_private_segment_size 0
		.amdhsa_wavefront_size32 1
		.amdhsa_uses_dynamic_stack 0
		.amdhsa_system_sgpr_private_segment_wavefront_offset 1
		.amdhsa_system_sgpr_workgroup_id_x 1
		.amdhsa_system_sgpr_workgroup_id_y 0
		.amdhsa_system_sgpr_workgroup_id_z 0
		.amdhsa_system_sgpr_workgroup_info 0
		.amdhsa_system_vgpr_workitem_id 0
		.amdhsa_next_free_vgpr 41
		.amdhsa_next_free_sgpr 34
		.amdhsa_reserve_vcc 1
		.amdhsa_reserve_flat_scratch 1
		.amdhsa_float_round_mode_32 0
		.amdhsa_float_round_mode_16_64 0
		.amdhsa_float_denorm_mode_32 3
		.amdhsa_float_denorm_mode_16_64 3
		.amdhsa_dx10_clamp 1
		.amdhsa_ieee_mode 1
		.amdhsa_fp16_overflow 0
		.amdhsa_workgroup_processor_mode 1
		.amdhsa_memory_ordered 1
		.amdhsa_forward_progress 1
		.amdhsa_shared_vgpr_count 0
		.amdhsa_exception_fp_ieee_invalid_op 0
		.amdhsa_exception_fp_denorm_src 0
		.amdhsa_exception_fp_ieee_div_zero 0
		.amdhsa_exception_fp_ieee_overflow 0
		.amdhsa_exception_fp_ieee_underflow 0
		.amdhsa_exception_fp_ieee_inexact 0
		.amdhsa_exception_int_div_zero 0
	.end_amdhsa_kernel
	.section	.text._Z12wvSplitK_hf_I6__halfLi64ELi2ELi16ELi8ELi2ELi1EEviiPKT_S3_PS1_ii,"axG",@progbits,_Z12wvSplitK_hf_I6__halfLi64ELi2ELi16ELi8ELi2ELi1EEviiPKT_S3_PS1_ii,comdat
.Lfunc_end11:
	.size	_Z12wvSplitK_hf_I6__halfLi64ELi2ELi16ELi8ELi2ELi1EEviiPKT_S3_PS1_ii, .Lfunc_end11-_Z12wvSplitK_hf_I6__halfLi64ELi2ELi16ELi8ELi2ELi1EEviiPKT_S3_PS1_ii
                                        ; -- End function
	.set _Z12wvSplitK_hf_I6__halfLi64ELi2ELi16ELi8ELi2ELi1EEviiPKT_S3_PS1_ii.num_vgpr, max(3, .L__assert_fail.num_vgpr)
	.set _Z12wvSplitK_hf_I6__halfLi64ELi2ELi16ELi8ELi2ELi1EEviiPKT_S3_PS1_ii.num_agpr, max(0, .L__assert_fail.num_agpr)
	.set _Z12wvSplitK_hf_I6__halfLi64ELi2ELi16ELi8ELi2ELi1EEviiPKT_S3_PS1_ii.numbered_sgpr, max(33, .L__assert_fail.numbered_sgpr)
	.set _Z12wvSplitK_hf_I6__halfLi64ELi2ELi16ELi8ELi2ELi1EEviiPKT_S3_PS1_ii.num_named_barrier, max(0, .L__assert_fail.num_named_barrier)
	.set _Z12wvSplitK_hf_I6__halfLi64ELi2ELi16ELi8ELi2ELi1EEviiPKT_S3_PS1_ii.private_seg_size, 0+max(.L__assert_fail.private_seg_size)
	.set _Z12wvSplitK_hf_I6__halfLi64ELi2ELi16ELi8ELi2ELi1EEviiPKT_S3_PS1_ii.uses_vcc, or(1, .L__assert_fail.uses_vcc)
	.set _Z12wvSplitK_hf_I6__halfLi64ELi2ELi16ELi8ELi2ELi1EEviiPKT_S3_PS1_ii.uses_flat_scratch, or(1, .L__assert_fail.uses_flat_scratch)
	.set _Z12wvSplitK_hf_I6__halfLi64ELi2ELi16ELi8ELi2ELi1EEviiPKT_S3_PS1_ii.has_dyn_sized_stack, or(0, .L__assert_fail.has_dyn_sized_stack)
	.set _Z12wvSplitK_hf_I6__halfLi64ELi2ELi16ELi8ELi2ELi1EEviiPKT_S3_PS1_ii.has_recursion, or(0, .L__assert_fail.has_recursion)
	.set _Z12wvSplitK_hf_I6__halfLi64ELi2ELi16ELi8ELi2ELi1EEviiPKT_S3_PS1_ii.has_indirect_call, or(0, .L__assert_fail.has_indirect_call)
	.section	.AMDGPU.csdata,"",@progbits
; Kernel info:
; codeLenInByte = 96
; TotalNumSgprs: 36
; NumVgprs: 41
; ScratchSize: 64
; MemoryBound: 0
; FloatMode: 240
; IeeeMode: 1
; LDSByteSize: 0 bytes/workgroup (compile time only)
; SGPRBlocks: 0
; VGPRBlocks: 5
; NumSGPRsForWavesPerEU: 36
; NumVGPRsForWavesPerEU: 41
; Occupancy: 16
; WaveLimiterHint : 1
; COMPUTE_PGM_RSRC2:SCRATCH_EN: 1
; COMPUTE_PGM_RSRC2:USER_SGPR: 8
; COMPUTE_PGM_RSRC2:TRAP_HANDLER: 0
; COMPUTE_PGM_RSRC2:TGID_X_EN: 1
; COMPUTE_PGM_RSRC2:TGID_Y_EN: 0
; COMPUTE_PGM_RSRC2:TGID_Z_EN: 0
; COMPUTE_PGM_RSRC2:TIDIG_COMP_CNT: 0
	.section	.text._Z16wvSplitK_hf_big_I6__halfLi64ELi2ELi16ELi8ELi2ELi1EEviiPKT_S3_PS1_ii,"axG",@progbits,_Z16wvSplitK_hf_big_I6__halfLi64ELi2ELi16ELi8ELi2ELi1EEviiPKT_S3_PS1_ii,comdat
	.protected	_Z16wvSplitK_hf_big_I6__halfLi64ELi2ELi16ELi8ELi2ELi1EEviiPKT_S3_PS1_ii ; -- Begin function _Z16wvSplitK_hf_big_I6__halfLi64ELi2ELi16ELi8ELi2ELi1EEviiPKT_S3_PS1_ii
	.globl	_Z16wvSplitK_hf_big_I6__halfLi64ELi2ELi16ELi8ELi2ELi1EEviiPKT_S3_PS1_ii
	.p2align	8
	.type	_Z16wvSplitK_hf_big_I6__halfLi64ELi2ELi16ELi8ELi2ELi1EEviiPKT_S3_PS1_ii,@function
_Z16wvSplitK_hf_big_I6__halfLi64ELi2ELi16ELi8ELi2ELi1EEviiPKT_S3_PS1_ii: ; @_Z16wvSplitK_hf_big_I6__halfLi64ELi2ELi16ELi8ELi2ELi1EEviiPKT_S3_PS1_ii
; %bb.0:
	s_add_u32 s6, s6, s9
	s_mov_b32 s32, 0
	s_addc_u32 s7, s7, 0
	s_setreg_b32 hwreg(HW_REG_FLAT_SCR_LO), s6
	s_setreg_b32 hwreg(HW_REG_FLAT_SCR_HI), s7
	s_add_u32 s0, s0, s9
	s_addc_u32 s1, s1, 0
	s_add_u32 s8, s4, 40
	s_addc_u32 s9, s5, 0
	s_getpc_b64 s[4:5]
	s_add_u32 s4, s4, __PRETTY_FUNCTION__._Z16wvSplitK_hf_big_I6__halfLi64ELi2ELi16ELi8ELi2ELi1EEviiPKT_S3_PS1_ii@rel32@lo+4
	s_addc_u32 s5, s5, __PRETTY_FUNCTION__._Z16wvSplitK_hf_big_I6__halfLi64ELi2ELi16ELi8ELi2ELi1EEviiPKT_S3_PS1_ii@rel32@hi+12
	v_mov_b32_e32 v0, 0x4ad
	v_mov_b32_e32 v1, s4
	;; [unrolled: 1-line block ×3, first 2 shown]
	s_getpc_b64 s[6:7]
	s_add_u32 s6, s6, __assert_fail@rel32@lo+4
	s_addc_u32 s7, s7, __assert_fail@rel32@hi+12
	s_swappc_b64 s[30:31], s[6:7]
	.section	.rodata,"a",@progbits
	.p2align	6, 0x0
	.amdhsa_kernel _Z16wvSplitK_hf_big_I6__halfLi64ELi2ELi16ELi8ELi2ELi1EEviiPKT_S3_PS1_ii
		.amdhsa_group_segment_fixed_size 0
		.amdhsa_private_segment_fixed_size 64
		.amdhsa_kernarg_size 296
		.amdhsa_user_sgpr_count 8
		.amdhsa_user_sgpr_private_segment_buffer 1
		.amdhsa_user_sgpr_dispatch_ptr 0
		.amdhsa_user_sgpr_queue_ptr 0
		.amdhsa_user_sgpr_kernarg_segment_ptr 1
		.amdhsa_user_sgpr_dispatch_id 0
		.amdhsa_user_sgpr_flat_scratch_init 1
		.amdhsa_user_sgpr_private_segment_size 0
		.amdhsa_wavefront_size32 1
		.amdhsa_uses_dynamic_stack 0
		.amdhsa_system_sgpr_private_segment_wavefront_offset 1
		.amdhsa_system_sgpr_workgroup_id_x 1
		.amdhsa_system_sgpr_workgroup_id_y 0
		.amdhsa_system_sgpr_workgroup_id_z 0
		.amdhsa_system_sgpr_workgroup_info 0
		.amdhsa_system_vgpr_workitem_id 0
		.amdhsa_next_free_vgpr 41
		.amdhsa_next_free_sgpr 34
		.amdhsa_reserve_vcc 1
		.amdhsa_reserve_flat_scratch 1
		.amdhsa_float_round_mode_32 0
		.amdhsa_float_round_mode_16_64 0
		.amdhsa_float_denorm_mode_32 3
		.amdhsa_float_denorm_mode_16_64 3
		.amdhsa_dx10_clamp 1
		.amdhsa_ieee_mode 1
		.amdhsa_fp16_overflow 0
		.amdhsa_workgroup_processor_mode 1
		.amdhsa_memory_ordered 1
		.amdhsa_forward_progress 1
		.amdhsa_shared_vgpr_count 0
		.amdhsa_exception_fp_ieee_invalid_op 0
		.amdhsa_exception_fp_denorm_src 0
		.amdhsa_exception_fp_ieee_div_zero 0
		.amdhsa_exception_fp_ieee_overflow 0
		.amdhsa_exception_fp_ieee_underflow 0
		.amdhsa_exception_fp_ieee_inexact 0
		.amdhsa_exception_int_div_zero 0
	.end_amdhsa_kernel
	.section	.text._Z16wvSplitK_hf_big_I6__halfLi64ELi2ELi16ELi8ELi2ELi1EEviiPKT_S3_PS1_ii,"axG",@progbits,_Z16wvSplitK_hf_big_I6__halfLi64ELi2ELi16ELi8ELi2ELi1EEviiPKT_S3_PS1_ii,comdat
.Lfunc_end12:
	.size	_Z16wvSplitK_hf_big_I6__halfLi64ELi2ELi16ELi8ELi2ELi1EEviiPKT_S3_PS1_ii, .Lfunc_end12-_Z16wvSplitK_hf_big_I6__halfLi64ELi2ELi16ELi8ELi2ELi1EEviiPKT_S3_PS1_ii
                                        ; -- End function
	.set _Z16wvSplitK_hf_big_I6__halfLi64ELi2ELi16ELi8ELi2ELi1EEviiPKT_S3_PS1_ii.num_vgpr, max(3, .L__assert_fail.num_vgpr)
	.set _Z16wvSplitK_hf_big_I6__halfLi64ELi2ELi16ELi8ELi2ELi1EEviiPKT_S3_PS1_ii.num_agpr, max(0, .L__assert_fail.num_agpr)
	.set _Z16wvSplitK_hf_big_I6__halfLi64ELi2ELi16ELi8ELi2ELi1EEviiPKT_S3_PS1_ii.numbered_sgpr, max(33, .L__assert_fail.numbered_sgpr)
	.set _Z16wvSplitK_hf_big_I6__halfLi64ELi2ELi16ELi8ELi2ELi1EEviiPKT_S3_PS1_ii.num_named_barrier, max(0, .L__assert_fail.num_named_barrier)
	.set _Z16wvSplitK_hf_big_I6__halfLi64ELi2ELi16ELi8ELi2ELi1EEviiPKT_S3_PS1_ii.private_seg_size, 0+max(.L__assert_fail.private_seg_size)
	.set _Z16wvSplitK_hf_big_I6__halfLi64ELi2ELi16ELi8ELi2ELi1EEviiPKT_S3_PS1_ii.uses_vcc, or(1, .L__assert_fail.uses_vcc)
	.set _Z16wvSplitK_hf_big_I6__halfLi64ELi2ELi16ELi8ELi2ELi1EEviiPKT_S3_PS1_ii.uses_flat_scratch, or(1, .L__assert_fail.uses_flat_scratch)
	.set _Z16wvSplitK_hf_big_I6__halfLi64ELi2ELi16ELi8ELi2ELi1EEviiPKT_S3_PS1_ii.has_dyn_sized_stack, or(0, .L__assert_fail.has_dyn_sized_stack)
	.set _Z16wvSplitK_hf_big_I6__halfLi64ELi2ELi16ELi8ELi2ELi1EEviiPKT_S3_PS1_ii.has_recursion, or(0, .L__assert_fail.has_recursion)
	.set _Z16wvSplitK_hf_big_I6__halfLi64ELi2ELi16ELi8ELi2ELi1EEviiPKT_S3_PS1_ii.has_indirect_call, or(0, .L__assert_fail.has_indirect_call)
	.section	.AMDGPU.csdata,"",@progbits
; Kernel info:
; codeLenInByte = 96
; TotalNumSgprs: 36
; NumVgprs: 41
; ScratchSize: 64
; MemoryBound: 0
; FloatMode: 240
; IeeeMode: 1
; LDSByteSize: 0 bytes/workgroup (compile time only)
; SGPRBlocks: 0
; VGPRBlocks: 5
; NumSGPRsForWavesPerEU: 36
; NumVGPRsForWavesPerEU: 41
; Occupancy: 16
; WaveLimiterHint : 1
; COMPUTE_PGM_RSRC2:SCRATCH_EN: 1
; COMPUTE_PGM_RSRC2:USER_SGPR: 8
; COMPUTE_PGM_RSRC2:TRAP_HANDLER: 0
; COMPUTE_PGM_RSRC2:TGID_X_EN: 1
; COMPUTE_PGM_RSRC2:TGID_Y_EN: 0
; COMPUTE_PGM_RSRC2:TGID_Z_EN: 0
; COMPUTE_PGM_RSRC2:TIDIG_COMP_CNT: 0
	.section	.text._Z16wvSplitK_hf_sml_I6__halfLi64ELi2ELi16ELi8ELi2ELi2EEviiPKT_S3_PS1_ii,"axG",@progbits,_Z16wvSplitK_hf_sml_I6__halfLi64ELi2ELi16ELi8ELi2ELi2EEviiPKT_S3_PS1_ii,comdat
	.protected	_Z16wvSplitK_hf_sml_I6__halfLi64ELi2ELi16ELi8ELi2ELi2EEviiPKT_S3_PS1_ii ; -- Begin function _Z16wvSplitK_hf_sml_I6__halfLi64ELi2ELi16ELi8ELi2ELi2EEviiPKT_S3_PS1_ii
	.globl	_Z16wvSplitK_hf_sml_I6__halfLi64ELi2ELi16ELi8ELi2ELi2EEviiPKT_S3_PS1_ii
	.p2align	8
	.type	_Z16wvSplitK_hf_sml_I6__halfLi64ELi2ELi16ELi8ELi2ELi2EEviiPKT_S3_PS1_ii,@function
_Z16wvSplitK_hf_sml_I6__halfLi64ELi2ELi16ELi8ELi2ELi2EEviiPKT_S3_PS1_ii: ; @_Z16wvSplitK_hf_sml_I6__halfLi64ELi2ELi16ELi8ELi2ELi2EEviiPKT_S3_PS1_ii
; %bb.0:
	s_add_u32 s6, s6, s9
	s_mov_b32 s32, 0
	s_addc_u32 s7, s7, 0
	s_setreg_b32 hwreg(HW_REG_FLAT_SCR_LO), s6
	s_setreg_b32 hwreg(HW_REG_FLAT_SCR_HI), s7
	s_add_u32 s0, s0, s9
	s_addc_u32 s1, s1, 0
	s_add_u32 s8, s4, 40
	s_addc_u32 s9, s5, 0
	s_getpc_b64 s[4:5]
	s_add_u32 s4, s4, __PRETTY_FUNCTION__._Z16wvSplitK_hf_sml_I6__halfLi64ELi2ELi16ELi8ELi2ELi2EEviiPKT_S3_PS1_ii@rel32@lo+4
	s_addc_u32 s5, s5, __PRETTY_FUNCTION__._Z16wvSplitK_hf_sml_I6__halfLi64ELi2ELi16ELi8ELi2ELi2EEviiPKT_S3_PS1_ii@rel32@hi+12
	v_mov_b32_e32 v0, 0x224
	v_mov_b32_e32 v1, s4
	;; [unrolled: 1-line block ×3, first 2 shown]
	s_getpc_b64 s[6:7]
	s_add_u32 s6, s6, __assert_fail@rel32@lo+4
	s_addc_u32 s7, s7, __assert_fail@rel32@hi+12
	s_swappc_b64 s[30:31], s[6:7]
	.section	.rodata,"a",@progbits
	.p2align	6, 0x0
	.amdhsa_kernel _Z16wvSplitK_hf_sml_I6__halfLi64ELi2ELi16ELi8ELi2ELi2EEviiPKT_S3_PS1_ii
		.amdhsa_group_segment_fixed_size 0
		.amdhsa_private_segment_fixed_size 64
		.amdhsa_kernarg_size 296
		.amdhsa_user_sgpr_count 8
		.amdhsa_user_sgpr_private_segment_buffer 1
		.amdhsa_user_sgpr_dispatch_ptr 0
		.amdhsa_user_sgpr_queue_ptr 0
		.amdhsa_user_sgpr_kernarg_segment_ptr 1
		.amdhsa_user_sgpr_dispatch_id 0
		.amdhsa_user_sgpr_flat_scratch_init 1
		.amdhsa_user_sgpr_private_segment_size 0
		.amdhsa_wavefront_size32 1
		.amdhsa_uses_dynamic_stack 0
		.amdhsa_system_sgpr_private_segment_wavefront_offset 1
		.amdhsa_system_sgpr_workgroup_id_x 1
		.amdhsa_system_sgpr_workgroup_id_y 0
		.amdhsa_system_sgpr_workgroup_id_z 0
		.amdhsa_system_sgpr_workgroup_info 0
		.amdhsa_system_vgpr_workitem_id 0
		.amdhsa_next_free_vgpr 41
		.amdhsa_next_free_sgpr 34
		.amdhsa_reserve_vcc 1
		.amdhsa_reserve_flat_scratch 1
		.amdhsa_float_round_mode_32 0
		.amdhsa_float_round_mode_16_64 0
		.amdhsa_float_denorm_mode_32 3
		.amdhsa_float_denorm_mode_16_64 3
		.amdhsa_dx10_clamp 1
		.amdhsa_ieee_mode 1
		.amdhsa_fp16_overflow 0
		.amdhsa_workgroup_processor_mode 1
		.amdhsa_memory_ordered 1
		.amdhsa_forward_progress 1
		.amdhsa_shared_vgpr_count 0
		.amdhsa_exception_fp_ieee_invalid_op 0
		.amdhsa_exception_fp_denorm_src 0
		.amdhsa_exception_fp_ieee_div_zero 0
		.amdhsa_exception_fp_ieee_overflow 0
		.amdhsa_exception_fp_ieee_underflow 0
		.amdhsa_exception_fp_ieee_inexact 0
		.amdhsa_exception_int_div_zero 0
	.end_amdhsa_kernel
	.section	.text._Z16wvSplitK_hf_sml_I6__halfLi64ELi2ELi16ELi8ELi2ELi2EEviiPKT_S3_PS1_ii,"axG",@progbits,_Z16wvSplitK_hf_sml_I6__halfLi64ELi2ELi16ELi8ELi2ELi2EEviiPKT_S3_PS1_ii,comdat
.Lfunc_end13:
	.size	_Z16wvSplitK_hf_sml_I6__halfLi64ELi2ELi16ELi8ELi2ELi2EEviiPKT_S3_PS1_ii, .Lfunc_end13-_Z16wvSplitK_hf_sml_I6__halfLi64ELi2ELi16ELi8ELi2ELi2EEviiPKT_S3_PS1_ii
                                        ; -- End function
	.set _Z16wvSplitK_hf_sml_I6__halfLi64ELi2ELi16ELi8ELi2ELi2EEviiPKT_S3_PS1_ii.num_vgpr, max(3, .L__assert_fail.num_vgpr)
	.set _Z16wvSplitK_hf_sml_I6__halfLi64ELi2ELi16ELi8ELi2ELi2EEviiPKT_S3_PS1_ii.num_agpr, max(0, .L__assert_fail.num_agpr)
	.set _Z16wvSplitK_hf_sml_I6__halfLi64ELi2ELi16ELi8ELi2ELi2EEviiPKT_S3_PS1_ii.numbered_sgpr, max(33, .L__assert_fail.numbered_sgpr)
	.set _Z16wvSplitK_hf_sml_I6__halfLi64ELi2ELi16ELi8ELi2ELi2EEviiPKT_S3_PS1_ii.num_named_barrier, max(0, .L__assert_fail.num_named_barrier)
	.set _Z16wvSplitK_hf_sml_I6__halfLi64ELi2ELi16ELi8ELi2ELi2EEviiPKT_S3_PS1_ii.private_seg_size, 0+max(.L__assert_fail.private_seg_size)
	.set _Z16wvSplitK_hf_sml_I6__halfLi64ELi2ELi16ELi8ELi2ELi2EEviiPKT_S3_PS1_ii.uses_vcc, or(1, .L__assert_fail.uses_vcc)
	.set _Z16wvSplitK_hf_sml_I6__halfLi64ELi2ELi16ELi8ELi2ELi2EEviiPKT_S3_PS1_ii.uses_flat_scratch, or(1, .L__assert_fail.uses_flat_scratch)
	.set _Z16wvSplitK_hf_sml_I6__halfLi64ELi2ELi16ELi8ELi2ELi2EEviiPKT_S3_PS1_ii.has_dyn_sized_stack, or(0, .L__assert_fail.has_dyn_sized_stack)
	.set _Z16wvSplitK_hf_sml_I6__halfLi64ELi2ELi16ELi8ELi2ELi2EEviiPKT_S3_PS1_ii.has_recursion, or(0, .L__assert_fail.has_recursion)
	.set _Z16wvSplitK_hf_sml_I6__halfLi64ELi2ELi16ELi8ELi2ELi2EEviiPKT_S3_PS1_ii.has_indirect_call, or(0, .L__assert_fail.has_indirect_call)
	.section	.AMDGPU.csdata,"",@progbits
; Kernel info:
; codeLenInByte = 96
; TotalNumSgprs: 36
; NumVgprs: 41
; ScratchSize: 64
; MemoryBound: 0
; FloatMode: 240
; IeeeMode: 1
; LDSByteSize: 0 bytes/workgroup (compile time only)
; SGPRBlocks: 0
; VGPRBlocks: 5
; NumSGPRsForWavesPerEU: 36
; NumVGPRsForWavesPerEU: 41
; Occupancy: 16
; WaveLimiterHint : 1
; COMPUTE_PGM_RSRC2:SCRATCH_EN: 1
; COMPUTE_PGM_RSRC2:USER_SGPR: 8
; COMPUTE_PGM_RSRC2:TRAP_HANDLER: 0
; COMPUTE_PGM_RSRC2:TGID_X_EN: 1
; COMPUTE_PGM_RSRC2:TGID_Y_EN: 0
; COMPUTE_PGM_RSRC2:TGID_Z_EN: 0
; COMPUTE_PGM_RSRC2:TIDIG_COMP_CNT: 0
	.section	.text._Z12wvSplitK_hf_I6__halfLi64ELi2ELi16ELi8ELi2ELi2EEviiPKT_S3_PS1_ii,"axG",@progbits,_Z12wvSplitK_hf_I6__halfLi64ELi2ELi16ELi8ELi2ELi2EEviiPKT_S3_PS1_ii,comdat
	.protected	_Z12wvSplitK_hf_I6__halfLi64ELi2ELi16ELi8ELi2ELi2EEviiPKT_S3_PS1_ii ; -- Begin function _Z12wvSplitK_hf_I6__halfLi64ELi2ELi16ELi8ELi2ELi2EEviiPKT_S3_PS1_ii
	.globl	_Z12wvSplitK_hf_I6__halfLi64ELi2ELi16ELi8ELi2ELi2EEviiPKT_S3_PS1_ii
	.p2align	8
	.type	_Z12wvSplitK_hf_I6__halfLi64ELi2ELi16ELi8ELi2ELi2EEviiPKT_S3_PS1_ii,@function
_Z12wvSplitK_hf_I6__halfLi64ELi2ELi16ELi8ELi2ELi2EEviiPKT_S3_PS1_ii: ; @_Z12wvSplitK_hf_I6__halfLi64ELi2ELi16ELi8ELi2ELi2EEviiPKT_S3_PS1_ii
; %bb.0:
	s_add_u32 s6, s6, s9
	s_mov_b32 s32, 0
	s_addc_u32 s7, s7, 0
	s_setreg_b32 hwreg(HW_REG_FLAT_SCR_LO), s6
	s_setreg_b32 hwreg(HW_REG_FLAT_SCR_HI), s7
	s_add_u32 s0, s0, s9
	s_addc_u32 s1, s1, 0
	s_add_u32 s8, s4, 40
	s_addc_u32 s9, s5, 0
	s_getpc_b64 s[4:5]
	s_add_u32 s4, s4, __PRETTY_FUNCTION__._Z12wvSplitK_hf_I6__halfLi64ELi2ELi16ELi8ELi2ELi2EEviiPKT_S3_PS1_ii@rel32@lo+4
	s_addc_u32 s5, s5, __PRETTY_FUNCTION__._Z12wvSplitK_hf_I6__halfLi64ELi2ELi16ELi8ELi2ELi2EEviiPKT_S3_PS1_ii@rel32@hi+12
	v_mov_b32_e32 v0, 0x351
	v_mov_b32_e32 v1, s4
	;; [unrolled: 1-line block ×3, first 2 shown]
	s_getpc_b64 s[6:7]
	s_add_u32 s6, s6, __assert_fail@rel32@lo+4
	s_addc_u32 s7, s7, __assert_fail@rel32@hi+12
	s_swappc_b64 s[30:31], s[6:7]
	.section	.rodata,"a",@progbits
	.p2align	6, 0x0
	.amdhsa_kernel _Z12wvSplitK_hf_I6__halfLi64ELi2ELi16ELi8ELi2ELi2EEviiPKT_S3_PS1_ii
		.amdhsa_group_segment_fixed_size 0
		.amdhsa_private_segment_fixed_size 64
		.amdhsa_kernarg_size 296
		.amdhsa_user_sgpr_count 8
		.amdhsa_user_sgpr_private_segment_buffer 1
		.amdhsa_user_sgpr_dispatch_ptr 0
		.amdhsa_user_sgpr_queue_ptr 0
		.amdhsa_user_sgpr_kernarg_segment_ptr 1
		.amdhsa_user_sgpr_dispatch_id 0
		.amdhsa_user_sgpr_flat_scratch_init 1
		.amdhsa_user_sgpr_private_segment_size 0
		.amdhsa_wavefront_size32 1
		.amdhsa_uses_dynamic_stack 0
		.amdhsa_system_sgpr_private_segment_wavefront_offset 1
		.amdhsa_system_sgpr_workgroup_id_x 1
		.amdhsa_system_sgpr_workgroup_id_y 0
		.amdhsa_system_sgpr_workgroup_id_z 0
		.amdhsa_system_sgpr_workgroup_info 0
		.amdhsa_system_vgpr_workitem_id 0
		.amdhsa_next_free_vgpr 41
		.amdhsa_next_free_sgpr 34
		.amdhsa_reserve_vcc 1
		.amdhsa_reserve_flat_scratch 1
		.amdhsa_float_round_mode_32 0
		.amdhsa_float_round_mode_16_64 0
		.amdhsa_float_denorm_mode_32 3
		.amdhsa_float_denorm_mode_16_64 3
		.amdhsa_dx10_clamp 1
		.amdhsa_ieee_mode 1
		.amdhsa_fp16_overflow 0
		.amdhsa_workgroup_processor_mode 1
		.amdhsa_memory_ordered 1
		.amdhsa_forward_progress 1
		.amdhsa_shared_vgpr_count 0
		.amdhsa_exception_fp_ieee_invalid_op 0
		.amdhsa_exception_fp_denorm_src 0
		.amdhsa_exception_fp_ieee_div_zero 0
		.amdhsa_exception_fp_ieee_overflow 0
		.amdhsa_exception_fp_ieee_underflow 0
		.amdhsa_exception_fp_ieee_inexact 0
		.amdhsa_exception_int_div_zero 0
	.end_amdhsa_kernel
	.section	.text._Z12wvSplitK_hf_I6__halfLi64ELi2ELi16ELi8ELi2ELi2EEviiPKT_S3_PS1_ii,"axG",@progbits,_Z12wvSplitK_hf_I6__halfLi64ELi2ELi16ELi8ELi2ELi2EEviiPKT_S3_PS1_ii,comdat
.Lfunc_end14:
	.size	_Z12wvSplitK_hf_I6__halfLi64ELi2ELi16ELi8ELi2ELi2EEviiPKT_S3_PS1_ii, .Lfunc_end14-_Z12wvSplitK_hf_I6__halfLi64ELi2ELi16ELi8ELi2ELi2EEviiPKT_S3_PS1_ii
                                        ; -- End function
	.set _Z12wvSplitK_hf_I6__halfLi64ELi2ELi16ELi8ELi2ELi2EEviiPKT_S3_PS1_ii.num_vgpr, max(3, .L__assert_fail.num_vgpr)
	.set _Z12wvSplitK_hf_I6__halfLi64ELi2ELi16ELi8ELi2ELi2EEviiPKT_S3_PS1_ii.num_agpr, max(0, .L__assert_fail.num_agpr)
	.set _Z12wvSplitK_hf_I6__halfLi64ELi2ELi16ELi8ELi2ELi2EEviiPKT_S3_PS1_ii.numbered_sgpr, max(33, .L__assert_fail.numbered_sgpr)
	.set _Z12wvSplitK_hf_I6__halfLi64ELi2ELi16ELi8ELi2ELi2EEviiPKT_S3_PS1_ii.num_named_barrier, max(0, .L__assert_fail.num_named_barrier)
	.set _Z12wvSplitK_hf_I6__halfLi64ELi2ELi16ELi8ELi2ELi2EEviiPKT_S3_PS1_ii.private_seg_size, 0+max(.L__assert_fail.private_seg_size)
	.set _Z12wvSplitK_hf_I6__halfLi64ELi2ELi16ELi8ELi2ELi2EEviiPKT_S3_PS1_ii.uses_vcc, or(1, .L__assert_fail.uses_vcc)
	.set _Z12wvSplitK_hf_I6__halfLi64ELi2ELi16ELi8ELi2ELi2EEviiPKT_S3_PS1_ii.uses_flat_scratch, or(1, .L__assert_fail.uses_flat_scratch)
	.set _Z12wvSplitK_hf_I6__halfLi64ELi2ELi16ELi8ELi2ELi2EEviiPKT_S3_PS1_ii.has_dyn_sized_stack, or(0, .L__assert_fail.has_dyn_sized_stack)
	.set _Z12wvSplitK_hf_I6__halfLi64ELi2ELi16ELi8ELi2ELi2EEviiPKT_S3_PS1_ii.has_recursion, or(0, .L__assert_fail.has_recursion)
	.set _Z12wvSplitK_hf_I6__halfLi64ELi2ELi16ELi8ELi2ELi2EEviiPKT_S3_PS1_ii.has_indirect_call, or(0, .L__assert_fail.has_indirect_call)
	.section	.AMDGPU.csdata,"",@progbits
; Kernel info:
; codeLenInByte = 96
; TotalNumSgprs: 36
; NumVgprs: 41
; ScratchSize: 64
; MemoryBound: 0
; FloatMode: 240
; IeeeMode: 1
; LDSByteSize: 0 bytes/workgroup (compile time only)
; SGPRBlocks: 0
; VGPRBlocks: 5
; NumSGPRsForWavesPerEU: 36
; NumVGPRsForWavesPerEU: 41
; Occupancy: 16
; WaveLimiterHint : 1
; COMPUTE_PGM_RSRC2:SCRATCH_EN: 1
; COMPUTE_PGM_RSRC2:USER_SGPR: 8
; COMPUTE_PGM_RSRC2:TRAP_HANDLER: 0
; COMPUTE_PGM_RSRC2:TGID_X_EN: 1
; COMPUTE_PGM_RSRC2:TGID_Y_EN: 0
; COMPUTE_PGM_RSRC2:TGID_Z_EN: 0
; COMPUTE_PGM_RSRC2:TIDIG_COMP_CNT: 0
	.section	.text._Z16wvSplitK_hf_big_I6__halfLi64ELi2ELi16ELi8ELi2ELi2EEviiPKT_S3_PS1_ii,"axG",@progbits,_Z16wvSplitK_hf_big_I6__halfLi64ELi2ELi16ELi8ELi2ELi2EEviiPKT_S3_PS1_ii,comdat
	.protected	_Z16wvSplitK_hf_big_I6__halfLi64ELi2ELi16ELi8ELi2ELi2EEviiPKT_S3_PS1_ii ; -- Begin function _Z16wvSplitK_hf_big_I6__halfLi64ELi2ELi16ELi8ELi2ELi2EEviiPKT_S3_PS1_ii
	.globl	_Z16wvSplitK_hf_big_I6__halfLi64ELi2ELi16ELi8ELi2ELi2EEviiPKT_S3_PS1_ii
	.p2align	8
	.type	_Z16wvSplitK_hf_big_I6__halfLi64ELi2ELi16ELi8ELi2ELi2EEviiPKT_S3_PS1_ii,@function
_Z16wvSplitK_hf_big_I6__halfLi64ELi2ELi16ELi8ELi2ELi2EEviiPKT_S3_PS1_ii: ; @_Z16wvSplitK_hf_big_I6__halfLi64ELi2ELi16ELi8ELi2ELi2EEviiPKT_S3_PS1_ii
; %bb.0:
	s_add_u32 s6, s6, s9
	s_mov_b32 s32, 0
	s_addc_u32 s7, s7, 0
	s_setreg_b32 hwreg(HW_REG_FLAT_SCR_LO), s6
	s_setreg_b32 hwreg(HW_REG_FLAT_SCR_HI), s7
	s_add_u32 s0, s0, s9
	s_addc_u32 s1, s1, 0
	s_add_u32 s8, s4, 40
	s_addc_u32 s9, s5, 0
	s_getpc_b64 s[4:5]
	s_add_u32 s4, s4, __PRETTY_FUNCTION__._Z16wvSplitK_hf_big_I6__halfLi64ELi2ELi16ELi8ELi2ELi2EEviiPKT_S3_PS1_ii@rel32@lo+4
	s_addc_u32 s5, s5, __PRETTY_FUNCTION__._Z16wvSplitK_hf_big_I6__halfLi64ELi2ELi16ELi8ELi2ELi2EEviiPKT_S3_PS1_ii@rel32@hi+12
	v_mov_b32_e32 v0, 0x4ad
	v_mov_b32_e32 v1, s4
	;; [unrolled: 1-line block ×3, first 2 shown]
	s_getpc_b64 s[6:7]
	s_add_u32 s6, s6, __assert_fail@rel32@lo+4
	s_addc_u32 s7, s7, __assert_fail@rel32@hi+12
	s_swappc_b64 s[30:31], s[6:7]
	.section	.rodata,"a",@progbits
	.p2align	6, 0x0
	.amdhsa_kernel _Z16wvSplitK_hf_big_I6__halfLi64ELi2ELi16ELi8ELi2ELi2EEviiPKT_S3_PS1_ii
		.amdhsa_group_segment_fixed_size 0
		.amdhsa_private_segment_fixed_size 64
		.amdhsa_kernarg_size 296
		.amdhsa_user_sgpr_count 8
		.amdhsa_user_sgpr_private_segment_buffer 1
		.amdhsa_user_sgpr_dispatch_ptr 0
		.amdhsa_user_sgpr_queue_ptr 0
		.amdhsa_user_sgpr_kernarg_segment_ptr 1
		.amdhsa_user_sgpr_dispatch_id 0
		.amdhsa_user_sgpr_flat_scratch_init 1
		.amdhsa_user_sgpr_private_segment_size 0
		.amdhsa_wavefront_size32 1
		.amdhsa_uses_dynamic_stack 0
		.amdhsa_system_sgpr_private_segment_wavefront_offset 1
		.amdhsa_system_sgpr_workgroup_id_x 1
		.amdhsa_system_sgpr_workgroup_id_y 0
		.amdhsa_system_sgpr_workgroup_id_z 0
		.amdhsa_system_sgpr_workgroup_info 0
		.amdhsa_system_vgpr_workitem_id 0
		.amdhsa_next_free_vgpr 41
		.amdhsa_next_free_sgpr 34
		.amdhsa_reserve_vcc 1
		.amdhsa_reserve_flat_scratch 1
		.amdhsa_float_round_mode_32 0
		.amdhsa_float_round_mode_16_64 0
		.amdhsa_float_denorm_mode_32 3
		.amdhsa_float_denorm_mode_16_64 3
		.amdhsa_dx10_clamp 1
		.amdhsa_ieee_mode 1
		.amdhsa_fp16_overflow 0
		.amdhsa_workgroup_processor_mode 1
		.amdhsa_memory_ordered 1
		.amdhsa_forward_progress 1
		.amdhsa_shared_vgpr_count 0
		.amdhsa_exception_fp_ieee_invalid_op 0
		.amdhsa_exception_fp_denorm_src 0
		.amdhsa_exception_fp_ieee_div_zero 0
		.amdhsa_exception_fp_ieee_overflow 0
		.amdhsa_exception_fp_ieee_underflow 0
		.amdhsa_exception_fp_ieee_inexact 0
		.amdhsa_exception_int_div_zero 0
	.end_amdhsa_kernel
	.section	.text._Z16wvSplitK_hf_big_I6__halfLi64ELi2ELi16ELi8ELi2ELi2EEviiPKT_S3_PS1_ii,"axG",@progbits,_Z16wvSplitK_hf_big_I6__halfLi64ELi2ELi16ELi8ELi2ELi2EEviiPKT_S3_PS1_ii,comdat
.Lfunc_end15:
	.size	_Z16wvSplitK_hf_big_I6__halfLi64ELi2ELi16ELi8ELi2ELi2EEviiPKT_S3_PS1_ii, .Lfunc_end15-_Z16wvSplitK_hf_big_I6__halfLi64ELi2ELi16ELi8ELi2ELi2EEviiPKT_S3_PS1_ii
                                        ; -- End function
	.set _Z16wvSplitK_hf_big_I6__halfLi64ELi2ELi16ELi8ELi2ELi2EEviiPKT_S3_PS1_ii.num_vgpr, max(3, .L__assert_fail.num_vgpr)
	.set _Z16wvSplitK_hf_big_I6__halfLi64ELi2ELi16ELi8ELi2ELi2EEviiPKT_S3_PS1_ii.num_agpr, max(0, .L__assert_fail.num_agpr)
	.set _Z16wvSplitK_hf_big_I6__halfLi64ELi2ELi16ELi8ELi2ELi2EEviiPKT_S3_PS1_ii.numbered_sgpr, max(33, .L__assert_fail.numbered_sgpr)
	.set _Z16wvSplitK_hf_big_I6__halfLi64ELi2ELi16ELi8ELi2ELi2EEviiPKT_S3_PS1_ii.num_named_barrier, max(0, .L__assert_fail.num_named_barrier)
	.set _Z16wvSplitK_hf_big_I6__halfLi64ELi2ELi16ELi8ELi2ELi2EEviiPKT_S3_PS1_ii.private_seg_size, 0+max(.L__assert_fail.private_seg_size)
	.set _Z16wvSplitK_hf_big_I6__halfLi64ELi2ELi16ELi8ELi2ELi2EEviiPKT_S3_PS1_ii.uses_vcc, or(1, .L__assert_fail.uses_vcc)
	.set _Z16wvSplitK_hf_big_I6__halfLi64ELi2ELi16ELi8ELi2ELi2EEviiPKT_S3_PS1_ii.uses_flat_scratch, or(1, .L__assert_fail.uses_flat_scratch)
	.set _Z16wvSplitK_hf_big_I6__halfLi64ELi2ELi16ELi8ELi2ELi2EEviiPKT_S3_PS1_ii.has_dyn_sized_stack, or(0, .L__assert_fail.has_dyn_sized_stack)
	.set _Z16wvSplitK_hf_big_I6__halfLi64ELi2ELi16ELi8ELi2ELi2EEviiPKT_S3_PS1_ii.has_recursion, or(0, .L__assert_fail.has_recursion)
	.set _Z16wvSplitK_hf_big_I6__halfLi64ELi2ELi16ELi8ELi2ELi2EEviiPKT_S3_PS1_ii.has_indirect_call, or(0, .L__assert_fail.has_indirect_call)
	.section	.AMDGPU.csdata,"",@progbits
; Kernel info:
; codeLenInByte = 96
; TotalNumSgprs: 36
; NumVgprs: 41
; ScratchSize: 64
; MemoryBound: 0
; FloatMode: 240
; IeeeMode: 1
; LDSByteSize: 0 bytes/workgroup (compile time only)
; SGPRBlocks: 0
; VGPRBlocks: 5
; NumSGPRsForWavesPerEU: 36
; NumVGPRsForWavesPerEU: 41
; Occupancy: 16
; WaveLimiterHint : 1
; COMPUTE_PGM_RSRC2:SCRATCH_EN: 1
; COMPUTE_PGM_RSRC2:USER_SGPR: 8
; COMPUTE_PGM_RSRC2:TRAP_HANDLER: 0
; COMPUTE_PGM_RSRC2:TGID_X_EN: 1
; COMPUTE_PGM_RSRC2:TGID_Y_EN: 0
; COMPUTE_PGM_RSRC2:TGID_Z_EN: 0
; COMPUTE_PGM_RSRC2:TIDIG_COMP_CNT: 0
	.section	.text._Z16wvSplitK_hf_sml_I6__halfLi64ELi4ELi16ELi8ELi1ELi3EEviiPKT_S3_PS1_ii,"axG",@progbits,_Z16wvSplitK_hf_sml_I6__halfLi64ELi4ELi16ELi8ELi1ELi3EEviiPKT_S3_PS1_ii,comdat
	.protected	_Z16wvSplitK_hf_sml_I6__halfLi64ELi4ELi16ELi8ELi1ELi3EEviiPKT_S3_PS1_ii ; -- Begin function _Z16wvSplitK_hf_sml_I6__halfLi64ELi4ELi16ELi8ELi1ELi3EEviiPKT_S3_PS1_ii
	.globl	_Z16wvSplitK_hf_sml_I6__halfLi64ELi4ELi16ELi8ELi1ELi3EEviiPKT_S3_PS1_ii
	.p2align	8
	.type	_Z16wvSplitK_hf_sml_I6__halfLi64ELi4ELi16ELi8ELi1ELi3EEviiPKT_S3_PS1_ii,@function
_Z16wvSplitK_hf_sml_I6__halfLi64ELi4ELi16ELi8ELi1ELi3EEviiPKT_S3_PS1_ii: ; @_Z16wvSplitK_hf_sml_I6__halfLi64ELi4ELi16ELi8ELi1ELi3EEviiPKT_S3_PS1_ii
; %bb.0:
	s_add_u32 s6, s6, s9
	s_mov_b32 s32, 0
	s_addc_u32 s7, s7, 0
	s_setreg_b32 hwreg(HW_REG_FLAT_SCR_LO), s6
	s_setreg_b32 hwreg(HW_REG_FLAT_SCR_HI), s7
	s_add_u32 s0, s0, s9
	s_addc_u32 s1, s1, 0
	s_add_u32 s8, s4, 40
	s_addc_u32 s9, s5, 0
	s_getpc_b64 s[4:5]
	s_add_u32 s4, s4, __PRETTY_FUNCTION__._Z16wvSplitK_hf_sml_I6__halfLi64ELi4ELi16ELi8ELi1ELi3EEviiPKT_S3_PS1_ii@rel32@lo+4
	s_addc_u32 s5, s5, __PRETTY_FUNCTION__._Z16wvSplitK_hf_sml_I6__halfLi64ELi4ELi16ELi8ELi1ELi3EEviiPKT_S3_PS1_ii@rel32@hi+12
	v_mov_b32_e32 v0, 0x224
	v_mov_b32_e32 v1, s4
	v_mov_b32_e32 v2, s5
	s_getpc_b64 s[6:7]
	s_add_u32 s6, s6, __assert_fail@rel32@lo+4
	s_addc_u32 s7, s7, __assert_fail@rel32@hi+12
	s_swappc_b64 s[30:31], s[6:7]
	.section	.rodata,"a",@progbits
	.p2align	6, 0x0
	.amdhsa_kernel _Z16wvSplitK_hf_sml_I6__halfLi64ELi4ELi16ELi8ELi1ELi3EEviiPKT_S3_PS1_ii
		.amdhsa_group_segment_fixed_size 0
		.amdhsa_private_segment_fixed_size 64
		.amdhsa_kernarg_size 296
		.amdhsa_user_sgpr_count 8
		.amdhsa_user_sgpr_private_segment_buffer 1
		.amdhsa_user_sgpr_dispatch_ptr 0
		.amdhsa_user_sgpr_queue_ptr 0
		.amdhsa_user_sgpr_kernarg_segment_ptr 1
		.amdhsa_user_sgpr_dispatch_id 0
		.amdhsa_user_sgpr_flat_scratch_init 1
		.amdhsa_user_sgpr_private_segment_size 0
		.amdhsa_wavefront_size32 1
		.amdhsa_uses_dynamic_stack 0
		.amdhsa_system_sgpr_private_segment_wavefront_offset 1
		.amdhsa_system_sgpr_workgroup_id_x 1
		.amdhsa_system_sgpr_workgroup_id_y 0
		.amdhsa_system_sgpr_workgroup_id_z 0
		.amdhsa_system_sgpr_workgroup_info 0
		.amdhsa_system_vgpr_workitem_id 0
		.amdhsa_next_free_vgpr 41
		.amdhsa_next_free_sgpr 34
		.amdhsa_reserve_vcc 1
		.amdhsa_reserve_flat_scratch 1
		.amdhsa_float_round_mode_32 0
		.amdhsa_float_round_mode_16_64 0
		.amdhsa_float_denorm_mode_32 3
		.amdhsa_float_denorm_mode_16_64 3
		.amdhsa_dx10_clamp 1
		.amdhsa_ieee_mode 1
		.amdhsa_fp16_overflow 0
		.amdhsa_workgroup_processor_mode 1
		.amdhsa_memory_ordered 1
		.amdhsa_forward_progress 1
		.amdhsa_shared_vgpr_count 0
		.amdhsa_exception_fp_ieee_invalid_op 0
		.amdhsa_exception_fp_denorm_src 0
		.amdhsa_exception_fp_ieee_div_zero 0
		.amdhsa_exception_fp_ieee_overflow 0
		.amdhsa_exception_fp_ieee_underflow 0
		.amdhsa_exception_fp_ieee_inexact 0
		.amdhsa_exception_int_div_zero 0
	.end_amdhsa_kernel
	.section	.text._Z16wvSplitK_hf_sml_I6__halfLi64ELi4ELi16ELi8ELi1ELi3EEviiPKT_S3_PS1_ii,"axG",@progbits,_Z16wvSplitK_hf_sml_I6__halfLi64ELi4ELi16ELi8ELi1ELi3EEviiPKT_S3_PS1_ii,comdat
.Lfunc_end16:
	.size	_Z16wvSplitK_hf_sml_I6__halfLi64ELi4ELi16ELi8ELi1ELi3EEviiPKT_S3_PS1_ii, .Lfunc_end16-_Z16wvSplitK_hf_sml_I6__halfLi64ELi4ELi16ELi8ELi1ELi3EEviiPKT_S3_PS1_ii
                                        ; -- End function
	.set _Z16wvSplitK_hf_sml_I6__halfLi64ELi4ELi16ELi8ELi1ELi3EEviiPKT_S3_PS1_ii.num_vgpr, max(3, .L__assert_fail.num_vgpr)
	.set _Z16wvSplitK_hf_sml_I6__halfLi64ELi4ELi16ELi8ELi1ELi3EEviiPKT_S3_PS1_ii.num_agpr, max(0, .L__assert_fail.num_agpr)
	.set _Z16wvSplitK_hf_sml_I6__halfLi64ELi4ELi16ELi8ELi1ELi3EEviiPKT_S3_PS1_ii.numbered_sgpr, max(33, .L__assert_fail.numbered_sgpr)
	.set _Z16wvSplitK_hf_sml_I6__halfLi64ELi4ELi16ELi8ELi1ELi3EEviiPKT_S3_PS1_ii.num_named_barrier, max(0, .L__assert_fail.num_named_barrier)
	.set _Z16wvSplitK_hf_sml_I6__halfLi64ELi4ELi16ELi8ELi1ELi3EEviiPKT_S3_PS1_ii.private_seg_size, 0+max(.L__assert_fail.private_seg_size)
	.set _Z16wvSplitK_hf_sml_I6__halfLi64ELi4ELi16ELi8ELi1ELi3EEviiPKT_S3_PS1_ii.uses_vcc, or(1, .L__assert_fail.uses_vcc)
	.set _Z16wvSplitK_hf_sml_I6__halfLi64ELi4ELi16ELi8ELi1ELi3EEviiPKT_S3_PS1_ii.uses_flat_scratch, or(1, .L__assert_fail.uses_flat_scratch)
	.set _Z16wvSplitK_hf_sml_I6__halfLi64ELi4ELi16ELi8ELi1ELi3EEviiPKT_S3_PS1_ii.has_dyn_sized_stack, or(0, .L__assert_fail.has_dyn_sized_stack)
	.set _Z16wvSplitK_hf_sml_I6__halfLi64ELi4ELi16ELi8ELi1ELi3EEviiPKT_S3_PS1_ii.has_recursion, or(0, .L__assert_fail.has_recursion)
	.set _Z16wvSplitK_hf_sml_I6__halfLi64ELi4ELi16ELi8ELi1ELi3EEviiPKT_S3_PS1_ii.has_indirect_call, or(0, .L__assert_fail.has_indirect_call)
	.section	.AMDGPU.csdata,"",@progbits
; Kernel info:
; codeLenInByte = 96
; TotalNumSgprs: 36
; NumVgprs: 41
; ScratchSize: 64
; MemoryBound: 0
; FloatMode: 240
; IeeeMode: 1
; LDSByteSize: 0 bytes/workgroup (compile time only)
; SGPRBlocks: 0
; VGPRBlocks: 5
; NumSGPRsForWavesPerEU: 36
; NumVGPRsForWavesPerEU: 41
; Occupancy: 16
; WaveLimiterHint : 1
; COMPUTE_PGM_RSRC2:SCRATCH_EN: 1
; COMPUTE_PGM_RSRC2:USER_SGPR: 8
; COMPUTE_PGM_RSRC2:TRAP_HANDLER: 0
; COMPUTE_PGM_RSRC2:TGID_X_EN: 1
; COMPUTE_PGM_RSRC2:TGID_Y_EN: 0
; COMPUTE_PGM_RSRC2:TGID_Z_EN: 0
; COMPUTE_PGM_RSRC2:TIDIG_COMP_CNT: 0
	.section	.text._Z12wvSplitK_hf_I6__halfLi64ELi7ELi16ELi8ELi1ELi3EEviiPKT_S3_PS1_ii,"axG",@progbits,_Z12wvSplitK_hf_I6__halfLi64ELi7ELi16ELi8ELi1ELi3EEviiPKT_S3_PS1_ii,comdat
	.protected	_Z12wvSplitK_hf_I6__halfLi64ELi7ELi16ELi8ELi1ELi3EEviiPKT_S3_PS1_ii ; -- Begin function _Z12wvSplitK_hf_I6__halfLi64ELi7ELi16ELi8ELi1ELi3EEviiPKT_S3_PS1_ii
	.globl	_Z12wvSplitK_hf_I6__halfLi64ELi7ELi16ELi8ELi1ELi3EEviiPKT_S3_PS1_ii
	.p2align	8
	.type	_Z12wvSplitK_hf_I6__halfLi64ELi7ELi16ELi8ELi1ELi3EEviiPKT_S3_PS1_ii,@function
_Z12wvSplitK_hf_I6__halfLi64ELi7ELi16ELi8ELi1ELi3EEviiPKT_S3_PS1_ii: ; @_Z12wvSplitK_hf_I6__halfLi64ELi7ELi16ELi8ELi1ELi3EEviiPKT_S3_PS1_ii
; %bb.0:
	s_add_u32 s6, s6, s9
	s_mov_b32 s32, 0
	s_addc_u32 s7, s7, 0
	s_setreg_b32 hwreg(HW_REG_FLAT_SCR_LO), s6
	s_setreg_b32 hwreg(HW_REG_FLAT_SCR_HI), s7
	s_add_u32 s0, s0, s9
	s_addc_u32 s1, s1, 0
	s_add_u32 s8, s4, 40
	s_addc_u32 s9, s5, 0
	s_getpc_b64 s[4:5]
	s_add_u32 s4, s4, __PRETTY_FUNCTION__._Z12wvSplitK_hf_I6__halfLi64ELi7ELi16ELi8ELi1ELi3EEviiPKT_S3_PS1_ii@rel32@lo+4
	s_addc_u32 s5, s5, __PRETTY_FUNCTION__._Z12wvSplitK_hf_I6__halfLi64ELi7ELi16ELi8ELi1ELi3EEviiPKT_S3_PS1_ii@rel32@hi+12
	v_mov_b32_e32 v0, 0x351
	v_mov_b32_e32 v1, s4
	;; [unrolled: 1-line block ×3, first 2 shown]
	s_getpc_b64 s[6:7]
	s_add_u32 s6, s6, __assert_fail@rel32@lo+4
	s_addc_u32 s7, s7, __assert_fail@rel32@hi+12
	s_swappc_b64 s[30:31], s[6:7]
	.section	.rodata,"a",@progbits
	.p2align	6, 0x0
	.amdhsa_kernel _Z12wvSplitK_hf_I6__halfLi64ELi7ELi16ELi8ELi1ELi3EEviiPKT_S3_PS1_ii
		.amdhsa_group_segment_fixed_size 0
		.amdhsa_private_segment_fixed_size 64
		.amdhsa_kernarg_size 296
		.amdhsa_user_sgpr_count 8
		.amdhsa_user_sgpr_private_segment_buffer 1
		.amdhsa_user_sgpr_dispatch_ptr 0
		.amdhsa_user_sgpr_queue_ptr 0
		.amdhsa_user_sgpr_kernarg_segment_ptr 1
		.amdhsa_user_sgpr_dispatch_id 0
		.amdhsa_user_sgpr_flat_scratch_init 1
		.amdhsa_user_sgpr_private_segment_size 0
		.amdhsa_wavefront_size32 1
		.amdhsa_uses_dynamic_stack 0
		.amdhsa_system_sgpr_private_segment_wavefront_offset 1
		.amdhsa_system_sgpr_workgroup_id_x 1
		.amdhsa_system_sgpr_workgroup_id_y 0
		.amdhsa_system_sgpr_workgroup_id_z 0
		.amdhsa_system_sgpr_workgroup_info 0
		.amdhsa_system_vgpr_workitem_id 0
		.amdhsa_next_free_vgpr 41
		.amdhsa_next_free_sgpr 34
		.amdhsa_reserve_vcc 1
		.amdhsa_reserve_flat_scratch 1
		.amdhsa_float_round_mode_32 0
		.amdhsa_float_round_mode_16_64 0
		.amdhsa_float_denorm_mode_32 3
		.amdhsa_float_denorm_mode_16_64 3
		.amdhsa_dx10_clamp 1
		.amdhsa_ieee_mode 1
		.amdhsa_fp16_overflow 0
		.amdhsa_workgroup_processor_mode 1
		.amdhsa_memory_ordered 1
		.amdhsa_forward_progress 1
		.amdhsa_shared_vgpr_count 0
		.amdhsa_exception_fp_ieee_invalid_op 0
		.amdhsa_exception_fp_denorm_src 0
		.amdhsa_exception_fp_ieee_div_zero 0
		.amdhsa_exception_fp_ieee_overflow 0
		.amdhsa_exception_fp_ieee_underflow 0
		.amdhsa_exception_fp_ieee_inexact 0
		.amdhsa_exception_int_div_zero 0
	.end_amdhsa_kernel
	.section	.text._Z12wvSplitK_hf_I6__halfLi64ELi7ELi16ELi8ELi1ELi3EEviiPKT_S3_PS1_ii,"axG",@progbits,_Z12wvSplitK_hf_I6__halfLi64ELi7ELi16ELi8ELi1ELi3EEviiPKT_S3_PS1_ii,comdat
.Lfunc_end17:
	.size	_Z12wvSplitK_hf_I6__halfLi64ELi7ELi16ELi8ELi1ELi3EEviiPKT_S3_PS1_ii, .Lfunc_end17-_Z12wvSplitK_hf_I6__halfLi64ELi7ELi16ELi8ELi1ELi3EEviiPKT_S3_PS1_ii
                                        ; -- End function
	.set _Z12wvSplitK_hf_I6__halfLi64ELi7ELi16ELi8ELi1ELi3EEviiPKT_S3_PS1_ii.num_vgpr, max(3, .L__assert_fail.num_vgpr)
	.set _Z12wvSplitK_hf_I6__halfLi64ELi7ELi16ELi8ELi1ELi3EEviiPKT_S3_PS1_ii.num_agpr, max(0, .L__assert_fail.num_agpr)
	.set _Z12wvSplitK_hf_I6__halfLi64ELi7ELi16ELi8ELi1ELi3EEviiPKT_S3_PS1_ii.numbered_sgpr, max(33, .L__assert_fail.numbered_sgpr)
	.set _Z12wvSplitK_hf_I6__halfLi64ELi7ELi16ELi8ELi1ELi3EEviiPKT_S3_PS1_ii.num_named_barrier, max(0, .L__assert_fail.num_named_barrier)
	.set _Z12wvSplitK_hf_I6__halfLi64ELi7ELi16ELi8ELi1ELi3EEviiPKT_S3_PS1_ii.private_seg_size, 0+max(.L__assert_fail.private_seg_size)
	.set _Z12wvSplitK_hf_I6__halfLi64ELi7ELi16ELi8ELi1ELi3EEviiPKT_S3_PS1_ii.uses_vcc, or(1, .L__assert_fail.uses_vcc)
	.set _Z12wvSplitK_hf_I6__halfLi64ELi7ELi16ELi8ELi1ELi3EEviiPKT_S3_PS1_ii.uses_flat_scratch, or(1, .L__assert_fail.uses_flat_scratch)
	.set _Z12wvSplitK_hf_I6__halfLi64ELi7ELi16ELi8ELi1ELi3EEviiPKT_S3_PS1_ii.has_dyn_sized_stack, or(0, .L__assert_fail.has_dyn_sized_stack)
	.set _Z12wvSplitK_hf_I6__halfLi64ELi7ELi16ELi8ELi1ELi3EEviiPKT_S3_PS1_ii.has_recursion, or(0, .L__assert_fail.has_recursion)
	.set _Z12wvSplitK_hf_I6__halfLi64ELi7ELi16ELi8ELi1ELi3EEviiPKT_S3_PS1_ii.has_indirect_call, or(0, .L__assert_fail.has_indirect_call)
	.section	.AMDGPU.csdata,"",@progbits
; Kernel info:
; codeLenInByte = 96
; TotalNumSgprs: 36
; NumVgprs: 41
; ScratchSize: 64
; MemoryBound: 0
; FloatMode: 240
; IeeeMode: 1
; LDSByteSize: 0 bytes/workgroup (compile time only)
; SGPRBlocks: 0
; VGPRBlocks: 5
; NumSGPRsForWavesPerEU: 36
; NumVGPRsForWavesPerEU: 41
; Occupancy: 16
; WaveLimiterHint : 1
; COMPUTE_PGM_RSRC2:SCRATCH_EN: 1
; COMPUTE_PGM_RSRC2:USER_SGPR: 8
; COMPUTE_PGM_RSRC2:TRAP_HANDLER: 0
; COMPUTE_PGM_RSRC2:TGID_X_EN: 1
; COMPUTE_PGM_RSRC2:TGID_Y_EN: 0
; COMPUTE_PGM_RSRC2:TGID_Z_EN: 0
; COMPUTE_PGM_RSRC2:TIDIG_COMP_CNT: 0
	.section	.text._Z16wvSplitK_hf_big_I6__halfLi64ELi7ELi16ELi8ELi1ELi3EEviiPKT_S3_PS1_ii,"axG",@progbits,_Z16wvSplitK_hf_big_I6__halfLi64ELi7ELi16ELi8ELi1ELi3EEviiPKT_S3_PS1_ii,comdat
	.protected	_Z16wvSplitK_hf_big_I6__halfLi64ELi7ELi16ELi8ELi1ELi3EEviiPKT_S3_PS1_ii ; -- Begin function _Z16wvSplitK_hf_big_I6__halfLi64ELi7ELi16ELi8ELi1ELi3EEviiPKT_S3_PS1_ii
	.globl	_Z16wvSplitK_hf_big_I6__halfLi64ELi7ELi16ELi8ELi1ELi3EEviiPKT_S3_PS1_ii
	.p2align	8
	.type	_Z16wvSplitK_hf_big_I6__halfLi64ELi7ELi16ELi8ELi1ELi3EEviiPKT_S3_PS1_ii,@function
_Z16wvSplitK_hf_big_I6__halfLi64ELi7ELi16ELi8ELi1ELi3EEviiPKT_S3_PS1_ii: ; @_Z16wvSplitK_hf_big_I6__halfLi64ELi7ELi16ELi8ELi1ELi3EEviiPKT_S3_PS1_ii
; %bb.0:
	s_add_u32 s6, s6, s9
	s_mov_b32 s32, 0
	s_addc_u32 s7, s7, 0
	s_setreg_b32 hwreg(HW_REG_FLAT_SCR_LO), s6
	s_setreg_b32 hwreg(HW_REG_FLAT_SCR_HI), s7
	s_add_u32 s0, s0, s9
	s_addc_u32 s1, s1, 0
	s_add_u32 s8, s4, 40
	s_addc_u32 s9, s5, 0
	s_getpc_b64 s[4:5]
	s_add_u32 s4, s4, __PRETTY_FUNCTION__._Z16wvSplitK_hf_big_I6__halfLi64ELi7ELi16ELi8ELi1ELi3EEviiPKT_S3_PS1_ii@rel32@lo+4
	s_addc_u32 s5, s5, __PRETTY_FUNCTION__._Z16wvSplitK_hf_big_I6__halfLi64ELi7ELi16ELi8ELi1ELi3EEviiPKT_S3_PS1_ii@rel32@hi+12
	v_mov_b32_e32 v0, 0x4ad
	v_mov_b32_e32 v1, s4
	;; [unrolled: 1-line block ×3, first 2 shown]
	s_getpc_b64 s[6:7]
	s_add_u32 s6, s6, __assert_fail@rel32@lo+4
	s_addc_u32 s7, s7, __assert_fail@rel32@hi+12
	s_swappc_b64 s[30:31], s[6:7]
	.section	.rodata,"a",@progbits
	.p2align	6, 0x0
	.amdhsa_kernel _Z16wvSplitK_hf_big_I6__halfLi64ELi7ELi16ELi8ELi1ELi3EEviiPKT_S3_PS1_ii
		.amdhsa_group_segment_fixed_size 0
		.amdhsa_private_segment_fixed_size 64
		.amdhsa_kernarg_size 296
		.amdhsa_user_sgpr_count 8
		.amdhsa_user_sgpr_private_segment_buffer 1
		.amdhsa_user_sgpr_dispatch_ptr 0
		.amdhsa_user_sgpr_queue_ptr 0
		.amdhsa_user_sgpr_kernarg_segment_ptr 1
		.amdhsa_user_sgpr_dispatch_id 0
		.amdhsa_user_sgpr_flat_scratch_init 1
		.amdhsa_user_sgpr_private_segment_size 0
		.amdhsa_wavefront_size32 1
		.amdhsa_uses_dynamic_stack 0
		.amdhsa_system_sgpr_private_segment_wavefront_offset 1
		.amdhsa_system_sgpr_workgroup_id_x 1
		.amdhsa_system_sgpr_workgroup_id_y 0
		.amdhsa_system_sgpr_workgroup_id_z 0
		.amdhsa_system_sgpr_workgroup_info 0
		.amdhsa_system_vgpr_workitem_id 0
		.amdhsa_next_free_vgpr 41
		.amdhsa_next_free_sgpr 34
		.amdhsa_reserve_vcc 1
		.amdhsa_reserve_flat_scratch 1
		.amdhsa_float_round_mode_32 0
		.amdhsa_float_round_mode_16_64 0
		.amdhsa_float_denorm_mode_32 3
		.amdhsa_float_denorm_mode_16_64 3
		.amdhsa_dx10_clamp 1
		.amdhsa_ieee_mode 1
		.amdhsa_fp16_overflow 0
		.amdhsa_workgroup_processor_mode 1
		.amdhsa_memory_ordered 1
		.amdhsa_forward_progress 1
		.amdhsa_shared_vgpr_count 0
		.amdhsa_exception_fp_ieee_invalid_op 0
		.amdhsa_exception_fp_denorm_src 0
		.amdhsa_exception_fp_ieee_div_zero 0
		.amdhsa_exception_fp_ieee_overflow 0
		.amdhsa_exception_fp_ieee_underflow 0
		.amdhsa_exception_fp_ieee_inexact 0
		.amdhsa_exception_int_div_zero 0
	.end_amdhsa_kernel
	.section	.text._Z16wvSplitK_hf_big_I6__halfLi64ELi7ELi16ELi8ELi1ELi3EEviiPKT_S3_PS1_ii,"axG",@progbits,_Z16wvSplitK_hf_big_I6__halfLi64ELi7ELi16ELi8ELi1ELi3EEviiPKT_S3_PS1_ii,comdat
.Lfunc_end18:
	.size	_Z16wvSplitK_hf_big_I6__halfLi64ELi7ELi16ELi8ELi1ELi3EEviiPKT_S3_PS1_ii, .Lfunc_end18-_Z16wvSplitK_hf_big_I6__halfLi64ELi7ELi16ELi8ELi1ELi3EEviiPKT_S3_PS1_ii
                                        ; -- End function
	.set _Z16wvSplitK_hf_big_I6__halfLi64ELi7ELi16ELi8ELi1ELi3EEviiPKT_S3_PS1_ii.num_vgpr, max(3, .L__assert_fail.num_vgpr)
	.set _Z16wvSplitK_hf_big_I6__halfLi64ELi7ELi16ELi8ELi1ELi3EEviiPKT_S3_PS1_ii.num_agpr, max(0, .L__assert_fail.num_agpr)
	.set _Z16wvSplitK_hf_big_I6__halfLi64ELi7ELi16ELi8ELi1ELi3EEviiPKT_S3_PS1_ii.numbered_sgpr, max(33, .L__assert_fail.numbered_sgpr)
	.set _Z16wvSplitK_hf_big_I6__halfLi64ELi7ELi16ELi8ELi1ELi3EEviiPKT_S3_PS1_ii.num_named_barrier, max(0, .L__assert_fail.num_named_barrier)
	.set _Z16wvSplitK_hf_big_I6__halfLi64ELi7ELi16ELi8ELi1ELi3EEviiPKT_S3_PS1_ii.private_seg_size, 0+max(.L__assert_fail.private_seg_size)
	.set _Z16wvSplitK_hf_big_I6__halfLi64ELi7ELi16ELi8ELi1ELi3EEviiPKT_S3_PS1_ii.uses_vcc, or(1, .L__assert_fail.uses_vcc)
	.set _Z16wvSplitK_hf_big_I6__halfLi64ELi7ELi16ELi8ELi1ELi3EEviiPKT_S3_PS1_ii.uses_flat_scratch, or(1, .L__assert_fail.uses_flat_scratch)
	.set _Z16wvSplitK_hf_big_I6__halfLi64ELi7ELi16ELi8ELi1ELi3EEviiPKT_S3_PS1_ii.has_dyn_sized_stack, or(0, .L__assert_fail.has_dyn_sized_stack)
	.set _Z16wvSplitK_hf_big_I6__halfLi64ELi7ELi16ELi8ELi1ELi3EEviiPKT_S3_PS1_ii.has_recursion, or(0, .L__assert_fail.has_recursion)
	.set _Z16wvSplitK_hf_big_I6__halfLi64ELi7ELi16ELi8ELi1ELi3EEviiPKT_S3_PS1_ii.has_indirect_call, or(0, .L__assert_fail.has_indirect_call)
	.section	.AMDGPU.csdata,"",@progbits
; Kernel info:
; codeLenInByte = 96
; TotalNumSgprs: 36
; NumVgprs: 41
; ScratchSize: 64
; MemoryBound: 0
; FloatMode: 240
; IeeeMode: 1
; LDSByteSize: 0 bytes/workgroup (compile time only)
; SGPRBlocks: 0
; VGPRBlocks: 5
; NumSGPRsForWavesPerEU: 36
; NumVGPRsForWavesPerEU: 41
; Occupancy: 16
; WaveLimiterHint : 1
; COMPUTE_PGM_RSRC2:SCRATCH_EN: 1
; COMPUTE_PGM_RSRC2:USER_SGPR: 8
; COMPUTE_PGM_RSRC2:TRAP_HANDLER: 0
; COMPUTE_PGM_RSRC2:TGID_X_EN: 1
; COMPUTE_PGM_RSRC2:TGID_Y_EN: 0
; COMPUTE_PGM_RSRC2:TGID_Z_EN: 0
; COMPUTE_PGM_RSRC2:TIDIG_COMP_CNT: 0
	.section	.text._Z16wvSplitK_hf_sml_I6__halfLi64ELi4ELi16ELi8ELi1ELi4EEviiPKT_S3_PS1_ii,"axG",@progbits,_Z16wvSplitK_hf_sml_I6__halfLi64ELi4ELi16ELi8ELi1ELi4EEviiPKT_S3_PS1_ii,comdat
	.protected	_Z16wvSplitK_hf_sml_I6__halfLi64ELi4ELi16ELi8ELi1ELi4EEviiPKT_S3_PS1_ii ; -- Begin function _Z16wvSplitK_hf_sml_I6__halfLi64ELi4ELi16ELi8ELi1ELi4EEviiPKT_S3_PS1_ii
	.globl	_Z16wvSplitK_hf_sml_I6__halfLi64ELi4ELi16ELi8ELi1ELi4EEviiPKT_S3_PS1_ii
	.p2align	8
	.type	_Z16wvSplitK_hf_sml_I6__halfLi64ELi4ELi16ELi8ELi1ELi4EEviiPKT_S3_PS1_ii,@function
_Z16wvSplitK_hf_sml_I6__halfLi64ELi4ELi16ELi8ELi1ELi4EEviiPKT_S3_PS1_ii: ; @_Z16wvSplitK_hf_sml_I6__halfLi64ELi4ELi16ELi8ELi1ELi4EEviiPKT_S3_PS1_ii
; %bb.0:
	s_add_u32 s6, s6, s9
	s_mov_b32 s32, 0
	s_addc_u32 s7, s7, 0
	s_setreg_b32 hwreg(HW_REG_FLAT_SCR_LO), s6
	s_setreg_b32 hwreg(HW_REG_FLAT_SCR_HI), s7
	s_add_u32 s0, s0, s9
	s_addc_u32 s1, s1, 0
	s_add_u32 s8, s4, 40
	s_addc_u32 s9, s5, 0
	s_getpc_b64 s[4:5]
	s_add_u32 s4, s4, __PRETTY_FUNCTION__._Z16wvSplitK_hf_sml_I6__halfLi64ELi4ELi16ELi8ELi1ELi4EEviiPKT_S3_PS1_ii@rel32@lo+4
	s_addc_u32 s5, s5, __PRETTY_FUNCTION__._Z16wvSplitK_hf_sml_I6__halfLi64ELi4ELi16ELi8ELi1ELi4EEviiPKT_S3_PS1_ii@rel32@hi+12
	v_mov_b32_e32 v0, 0x224
	v_mov_b32_e32 v1, s4
	;; [unrolled: 1-line block ×3, first 2 shown]
	s_getpc_b64 s[6:7]
	s_add_u32 s6, s6, __assert_fail@rel32@lo+4
	s_addc_u32 s7, s7, __assert_fail@rel32@hi+12
	s_swappc_b64 s[30:31], s[6:7]
	.section	.rodata,"a",@progbits
	.p2align	6, 0x0
	.amdhsa_kernel _Z16wvSplitK_hf_sml_I6__halfLi64ELi4ELi16ELi8ELi1ELi4EEviiPKT_S3_PS1_ii
		.amdhsa_group_segment_fixed_size 0
		.amdhsa_private_segment_fixed_size 64
		.amdhsa_kernarg_size 296
		.amdhsa_user_sgpr_count 8
		.amdhsa_user_sgpr_private_segment_buffer 1
		.amdhsa_user_sgpr_dispatch_ptr 0
		.amdhsa_user_sgpr_queue_ptr 0
		.amdhsa_user_sgpr_kernarg_segment_ptr 1
		.amdhsa_user_sgpr_dispatch_id 0
		.amdhsa_user_sgpr_flat_scratch_init 1
		.amdhsa_user_sgpr_private_segment_size 0
		.amdhsa_wavefront_size32 1
		.amdhsa_uses_dynamic_stack 0
		.amdhsa_system_sgpr_private_segment_wavefront_offset 1
		.amdhsa_system_sgpr_workgroup_id_x 1
		.amdhsa_system_sgpr_workgroup_id_y 0
		.amdhsa_system_sgpr_workgroup_id_z 0
		.amdhsa_system_sgpr_workgroup_info 0
		.amdhsa_system_vgpr_workitem_id 0
		.amdhsa_next_free_vgpr 41
		.amdhsa_next_free_sgpr 34
		.amdhsa_reserve_vcc 1
		.amdhsa_reserve_flat_scratch 1
		.amdhsa_float_round_mode_32 0
		.amdhsa_float_round_mode_16_64 0
		.amdhsa_float_denorm_mode_32 3
		.amdhsa_float_denorm_mode_16_64 3
		.amdhsa_dx10_clamp 1
		.amdhsa_ieee_mode 1
		.amdhsa_fp16_overflow 0
		.amdhsa_workgroup_processor_mode 1
		.amdhsa_memory_ordered 1
		.amdhsa_forward_progress 1
		.amdhsa_shared_vgpr_count 0
		.amdhsa_exception_fp_ieee_invalid_op 0
		.amdhsa_exception_fp_denorm_src 0
		.amdhsa_exception_fp_ieee_div_zero 0
		.amdhsa_exception_fp_ieee_overflow 0
		.amdhsa_exception_fp_ieee_underflow 0
		.amdhsa_exception_fp_ieee_inexact 0
		.amdhsa_exception_int_div_zero 0
	.end_amdhsa_kernel
	.section	.text._Z16wvSplitK_hf_sml_I6__halfLi64ELi4ELi16ELi8ELi1ELi4EEviiPKT_S3_PS1_ii,"axG",@progbits,_Z16wvSplitK_hf_sml_I6__halfLi64ELi4ELi16ELi8ELi1ELi4EEviiPKT_S3_PS1_ii,comdat
.Lfunc_end19:
	.size	_Z16wvSplitK_hf_sml_I6__halfLi64ELi4ELi16ELi8ELi1ELi4EEviiPKT_S3_PS1_ii, .Lfunc_end19-_Z16wvSplitK_hf_sml_I6__halfLi64ELi4ELi16ELi8ELi1ELi4EEviiPKT_S3_PS1_ii
                                        ; -- End function
	.set _Z16wvSplitK_hf_sml_I6__halfLi64ELi4ELi16ELi8ELi1ELi4EEviiPKT_S3_PS1_ii.num_vgpr, max(3, .L__assert_fail.num_vgpr)
	.set _Z16wvSplitK_hf_sml_I6__halfLi64ELi4ELi16ELi8ELi1ELi4EEviiPKT_S3_PS1_ii.num_agpr, max(0, .L__assert_fail.num_agpr)
	.set _Z16wvSplitK_hf_sml_I6__halfLi64ELi4ELi16ELi8ELi1ELi4EEviiPKT_S3_PS1_ii.numbered_sgpr, max(33, .L__assert_fail.numbered_sgpr)
	.set _Z16wvSplitK_hf_sml_I6__halfLi64ELi4ELi16ELi8ELi1ELi4EEviiPKT_S3_PS1_ii.num_named_barrier, max(0, .L__assert_fail.num_named_barrier)
	.set _Z16wvSplitK_hf_sml_I6__halfLi64ELi4ELi16ELi8ELi1ELi4EEviiPKT_S3_PS1_ii.private_seg_size, 0+max(.L__assert_fail.private_seg_size)
	.set _Z16wvSplitK_hf_sml_I6__halfLi64ELi4ELi16ELi8ELi1ELi4EEviiPKT_S3_PS1_ii.uses_vcc, or(1, .L__assert_fail.uses_vcc)
	.set _Z16wvSplitK_hf_sml_I6__halfLi64ELi4ELi16ELi8ELi1ELi4EEviiPKT_S3_PS1_ii.uses_flat_scratch, or(1, .L__assert_fail.uses_flat_scratch)
	.set _Z16wvSplitK_hf_sml_I6__halfLi64ELi4ELi16ELi8ELi1ELi4EEviiPKT_S3_PS1_ii.has_dyn_sized_stack, or(0, .L__assert_fail.has_dyn_sized_stack)
	.set _Z16wvSplitK_hf_sml_I6__halfLi64ELi4ELi16ELi8ELi1ELi4EEviiPKT_S3_PS1_ii.has_recursion, or(0, .L__assert_fail.has_recursion)
	.set _Z16wvSplitK_hf_sml_I6__halfLi64ELi4ELi16ELi8ELi1ELi4EEviiPKT_S3_PS1_ii.has_indirect_call, or(0, .L__assert_fail.has_indirect_call)
	.section	.AMDGPU.csdata,"",@progbits
; Kernel info:
; codeLenInByte = 96
; TotalNumSgprs: 36
; NumVgprs: 41
; ScratchSize: 64
; MemoryBound: 0
; FloatMode: 240
; IeeeMode: 1
; LDSByteSize: 0 bytes/workgroup (compile time only)
; SGPRBlocks: 0
; VGPRBlocks: 5
; NumSGPRsForWavesPerEU: 36
; NumVGPRsForWavesPerEU: 41
; Occupancy: 16
; WaveLimiterHint : 1
; COMPUTE_PGM_RSRC2:SCRATCH_EN: 1
; COMPUTE_PGM_RSRC2:USER_SGPR: 8
; COMPUTE_PGM_RSRC2:TRAP_HANDLER: 0
; COMPUTE_PGM_RSRC2:TGID_X_EN: 1
; COMPUTE_PGM_RSRC2:TGID_Y_EN: 0
; COMPUTE_PGM_RSRC2:TGID_Z_EN: 0
; COMPUTE_PGM_RSRC2:TIDIG_COMP_CNT: 0
	.section	.text._Z12wvSplitK_hf_I6__halfLi64ELi7ELi16ELi8ELi1ELi4EEviiPKT_S3_PS1_ii,"axG",@progbits,_Z12wvSplitK_hf_I6__halfLi64ELi7ELi16ELi8ELi1ELi4EEviiPKT_S3_PS1_ii,comdat
	.protected	_Z12wvSplitK_hf_I6__halfLi64ELi7ELi16ELi8ELi1ELi4EEviiPKT_S3_PS1_ii ; -- Begin function _Z12wvSplitK_hf_I6__halfLi64ELi7ELi16ELi8ELi1ELi4EEviiPKT_S3_PS1_ii
	.globl	_Z12wvSplitK_hf_I6__halfLi64ELi7ELi16ELi8ELi1ELi4EEviiPKT_S3_PS1_ii
	.p2align	8
	.type	_Z12wvSplitK_hf_I6__halfLi64ELi7ELi16ELi8ELi1ELi4EEviiPKT_S3_PS1_ii,@function
_Z12wvSplitK_hf_I6__halfLi64ELi7ELi16ELi8ELi1ELi4EEviiPKT_S3_PS1_ii: ; @_Z12wvSplitK_hf_I6__halfLi64ELi7ELi16ELi8ELi1ELi4EEviiPKT_S3_PS1_ii
; %bb.0:
	s_add_u32 s6, s6, s9
	s_mov_b32 s32, 0
	s_addc_u32 s7, s7, 0
	s_setreg_b32 hwreg(HW_REG_FLAT_SCR_LO), s6
	s_setreg_b32 hwreg(HW_REG_FLAT_SCR_HI), s7
	s_add_u32 s0, s0, s9
	s_addc_u32 s1, s1, 0
	s_add_u32 s8, s4, 40
	s_addc_u32 s9, s5, 0
	s_getpc_b64 s[4:5]
	s_add_u32 s4, s4, __PRETTY_FUNCTION__._Z12wvSplitK_hf_I6__halfLi64ELi7ELi16ELi8ELi1ELi4EEviiPKT_S3_PS1_ii@rel32@lo+4
	s_addc_u32 s5, s5, __PRETTY_FUNCTION__._Z12wvSplitK_hf_I6__halfLi64ELi7ELi16ELi8ELi1ELi4EEviiPKT_S3_PS1_ii@rel32@hi+12
	v_mov_b32_e32 v0, 0x351
	v_mov_b32_e32 v1, s4
	;; [unrolled: 1-line block ×3, first 2 shown]
	s_getpc_b64 s[6:7]
	s_add_u32 s6, s6, __assert_fail@rel32@lo+4
	s_addc_u32 s7, s7, __assert_fail@rel32@hi+12
	s_swappc_b64 s[30:31], s[6:7]
	.section	.rodata,"a",@progbits
	.p2align	6, 0x0
	.amdhsa_kernel _Z12wvSplitK_hf_I6__halfLi64ELi7ELi16ELi8ELi1ELi4EEviiPKT_S3_PS1_ii
		.amdhsa_group_segment_fixed_size 0
		.amdhsa_private_segment_fixed_size 64
		.amdhsa_kernarg_size 296
		.amdhsa_user_sgpr_count 8
		.amdhsa_user_sgpr_private_segment_buffer 1
		.amdhsa_user_sgpr_dispatch_ptr 0
		.amdhsa_user_sgpr_queue_ptr 0
		.amdhsa_user_sgpr_kernarg_segment_ptr 1
		.amdhsa_user_sgpr_dispatch_id 0
		.amdhsa_user_sgpr_flat_scratch_init 1
		.amdhsa_user_sgpr_private_segment_size 0
		.amdhsa_wavefront_size32 1
		.amdhsa_uses_dynamic_stack 0
		.amdhsa_system_sgpr_private_segment_wavefront_offset 1
		.amdhsa_system_sgpr_workgroup_id_x 1
		.amdhsa_system_sgpr_workgroup_id_y 0
		.amdhsa_system_sgpr_workgroup_id_z 0
		.amdhsa_system_sgpr_workgroup_info 0
		.amdhsa_system_vgpr_workitem_id 0
		.amdhsa_next_free_vgpr 41
		.amdhsa_next_free_sgpr 34
		.amdhsa_reserve_vcc 1
		.amdhsa_reserve_flat_scratch 1
		.amdhsa_float_round_mode_32 0
		.amdhsa_float_round_mode_16_64 0
		.amdhsa_float_denorm_mode_32 3
		.amdhsa_float_denorm_mode_16_64 3
		.amdhsa_dx10_clamp 1
		.amdhsa_ieee_mode 1
		.amdhsa_fp16_overflow 0
		.amdhsa_workgroup_processor_mode 1
		.amdhsa_memory_ordered 1
		.amdhsa_forward_progress 1
		.amdhsa_shared_vgpr_count 0
		.amdhsa_exception_fp_ieee_invalid_op 0
		.amdhsa_exception_fp_denorm_src 0
		.amdhsa_exception_fp_ieee_div_zero 0
		.amdhsa_exception_fp_ieee_overflow 0
		.amdhsa_exception_fp_ieee_underflow 0
		.amdhsa_exception_fp_ieee_inexact 0
		.amdhsa_exception_int_div_zero 0
	.end_amdhsa_kernel
	.section	.text._Z12wvSplitK_hf_I6__halfLi64ELi7ELi16ELi8ELi1ELi4EEviiPKT_S3_PS1_ii,"axG",@progbits,_Z12wvSplitK_hf_I6__halfLi64ELi7ELi16ELi8ELi1ELi4EEviiPKT_S3_PS1_ii,comdat
.Lfunc_end20:
	.size	_Z12wvSplitK_hf_I6__halfLi64ELi7ELi16ELi8ELi1ELi4EEviiPKT_S3_PS1_ii, .Lfunc_end20-_Z12wvSplitK_hf_I6__halfLi64ELi7ELi16ELi8ELi1ELi4EEviiPKT_S3_PS1_ii
                                        ; -- End function
	.set _Z12wvSplitK_hf_I6__halfLi64ELi7ELi16ELi8ELi1ELi4EEviiPKT_S3_PS1_ii.num_vgpr, max(3, .L__assert_fail.num_vgpr)
	.set _Z12wvSplitK_hf_I6__halfLi64ELi7ELi16ELi8ELi1ELi4EEviiPKT_S3_PS1_ii.num_agpr, max(0, .L__assert_fail.num_agpr)
	.set _Z12wvSplitK_hf_I6__halfLi64ELi7ELi16ELi8ELi1ELi4EEviiPKT_S3_PS1_ii.numbered_sgpr, max(33, .L__assert_fail.numbered_sgpr)
	.set _Z12wvSplitK_hf_I6__halfLi64ELi7ELi16ELi8ELi1ELi4EEviiPKT_S3_PS1_ii.num_named_barrier, max(0, .L__assert_fail.num_named_barrier)
	.set _Z12wvSplitK_hf_I6__halfLi64ELi7ELi16ELi8ELi1ELi4EEviiPKT_S3_PS1_ii.private_seg_size, 0+max(.L__assert_fail.private_seg_size)
	.set _Z12wvSplitK_hf_I6__halfLi64ELi7ELi16ELi8ELi1ELi4EEviiPKT_S3_PS1_ii.uses_vcc, or(1, .L__assert_fail.uses_vcc)
	.set _Z12wvSplitK_hf_I6__halfLi64ELi7ELi16ELi8ELi1ELi4EEviiPKT_S3_PS1_ii.uses_flat_scratch, or(1, .L__assert_fail.uses_flat_scratch)
	.set _Z12wvSplitK_hf_I6__halfLi64ELi7ELi16ELi8ELi1ELi4EEviiPKT_S3_PS1_ii.has_dyn_sized_stack, or(0, .L__assert_fail.has_dyn_sized_stack)
	.set _Z12wvSplitK_hf_I6__halfLi64ELi7ELi16ELi8ELi1ELi4EEviiPKT_S3_PS1_ii.has_recursion, or(0, .L__assert_fail.has_recursion)
	.set _Z12wvSplitK_hf_I6__halfLi64ELi7ELi16ELi8ELi1ELi4EEviiPKT_S3_PS1_ii.has_indirect_call, or(0, .L__assert_fail.has_indirect_call)
	.section	.AMDGPU.csdata,"",@progbits
; Kernel info:
; codeLenInByte = 96
; TotalNumSgprs: 36
; NumVgprs: 41
; ScratchSize: 64
; MemoryBound: 0
; FloatMode: 240
; IeeeMode: 1
; LDSByteSize: 0 bytes/workgroup (compile time only)
; SGPRBlocks: 0
; VGPRBlocks: 5
; NumSGPRsForWavesPerEU: 36
; NumVGPRsForWavesPerEU: 41
; Occupancy: 16
; WaveLimiterHint : 1
; COMPUTE_PGM_RSRC2:SCRATCH_EN: 1
; COMPUTE_PGM_RSRC2:USER_SGPR: 8
; COMPUTE_PGM_RSRC2:TRAP_HANDLER: 0
; COMPUTE_PGM_RSRC2:TGID_X_EN: 1
; COMPUTE_PGM_RSRC2:TGID_Y_EN: 0
; COMPUTE_PGM_RSRC2:TGID_Z_EN: 0
; COMPUTE_PGM_RSRC2:TIDIG_COMP_CNT: 0
	.section	.text._Z16wvSplitK_hf_big_I6__halfLi64ELi7ELi16ELi8ELi1ELi4EEviiPKT_S3_PS1_ii,"axG",@progbits,_Z16wvSplitK_hf_big_I6__halfLi64ELi7ELi16ELi8ELi1ELi4EEviiPKT_S3_PS1_ii,comdat
	.protected	_Z16wvSplitK_hf_big_I6__halfLi64ELi7ELi16ELi8ELi1ELi4EEviiPKT_S3_PS1_ii ; -- Begin function _Z16wvSplitK_hf_big_I6__halfLi64ELi7ELi16ELi8ELi1ELi4EEviiPKT_S3_PS1_ii
	.globl	_Z16wvSplitK_hf_big_I6__halfLi64ELi7ELi16ELi8ELi1ELi4EEviiPKT_S3_PS1_ii
	.p2align	8
	.type	_Z16wvSplitK_hf_big_I6__halfLi64ELi7ELi16ELi8ELi1ELi4EEviiPKT_S3_PS1_ii,@function
_Z16wvSplitK_hf_big_I6__halfLi64ELi7ELi16ELi8ELi1ELi4EEviiPKT_S3_PS1_ii: ; @_Z16wvSplitK_hf_big_I6__halfLi64ELi7ELi16ELi8ELi1ELi4EEviiPKT_S3_PS1_ii
; %bb.0:
	s_add_u32 s6, s6, s9
	s_mov_b32 s32, 0
	s_addc_u32 s7, s7, 0
	s_setreg_b32 hwreg(HW_REG_FLAT_SCR_LO), s6
	s_setreg_b32 hwreg(HW_REG_FLAT_SCR_HI), s7
	s_add_u32 s0, s0, s9
	s_addc_u32 s1, s1, 0
	s_add_u32 s8, s4, 40
	s_addc_u32 s9, s5, 0
	s_getpc_b64 s[4:5]
	s_add_u32 s4, s4, __PRETTY_FUNCTION__._Z16wvSplitK_hf_big_I6__halfLi64ELi7ELi16ELi8ELi1ELi4EEviiPKT_S3_PS1_ii@rel32@lo+4
	s_addc_u32 s5, s5, __PRETTY_FUNCTION__._Z16wvSplitK_hf_big_I6__halfLi64ELi7ELi16ELi8ELi1ELi4EEviiPKT_S3_PS1_ii@rel32@hi+12
	v_mov_b32_e32 v0, 0x4ad
	v_mov_b32_e32 v1, s4
	;; [unrolled: 1-line block ×3, first 2 shown]
	s_getpc_b64 s[6:7]
	s_add_u32 s6, s6, __assert_fail@rel32@lo+4
	s_addc_u32 s7, s7, __assert_fail@rel32@hi+12
	s_swappc_b64 s[30:31], s[6:7]
	.section	.rodata,"a",@progbits
	.p2align	6, 0x0
	.amdhsa_kernel _Z16wvSplitK_hf_big_I6__halfLi64ELi7ELi16ELi8ELi1ELi4EEviiPKT_S3_PS1_ii
		.amdhsa_group_segment_fixed_size 0
		.amdhsa_private_segment_fixed_size 64
		.amdhsa_kernarg_size 296
		.amdhsa_user_sgpr_count 8
		.amdhsa_user_sgpr_private_segment_buffer 1
		.amdhsa_user_sgpr_dispatch_ptr 0
		.amdhsa_user_sgpr_queue_ptr 0
		.amdhsa_user_sgpr_kernarg_segment_ptr 1
		.amdhsa_user_sgpr_dispatch_id 0
		.amdhsa_user_sgpr_flat_scratch_init 1
		.amdhsa_user_sgpr_private_segment_size 0
		.amdhsa_wavefront_size32 1
		.amdhsa_uses_dynamic_stack 0
		.amdhsa_system_sgpr_private_segment_wavefront_offset 1
		.amdhsa_system_sgpr_workgroup_id_x 1
		.amdhsa_system_sgpr_workgroup_id_y 0
		.amdhsa_system_sgpr_workgroup_id_z 0
		.amdhsa_system_sgpr_workgroup_info 0
		.amdhsa_system_vgpr_workitem_id 0
		.amdhsa_next_free_vgpr 41
		.amdhsa_next_free_sgpr 34
		.amdhsa_reserve_vcc 1
		.amdhsa_reserve_flat_scratch 1
		.amdhsa_float_round_mode_32 0
		.amdhsa_float_round_mode_16_64 0
		.amdhsa_float_denorm_mode_32 3
		.amdhsa_float_denorm_mode_16_64 3
		.amdhsa_dx10_clamp 1
		.amdhsa_ieee_mode 1
		.amdhsa_fp16_overflow 0
		.amdhsa_workgroup_processor_mode 1
		.amdhsa_memory_ordered 1
		.amdhsa_forward_progress 1
		.amdhsa_shared_vgpr_count 0
		.amdhsa_exception_fp_ieee_invalid_op 0
		.amdhsa_exception_fp_denorm_src 0
		.amdhsa_exception_fp_ieee_div_zero 0
		.amdhsa_exception_fp_ieee_overflow 0
		.amdhsa_exception_fp_ieee_underflow 0
		.amdhsa_exception_fp_ieee_inexact 0
		.amdhsa_exception_int_div_zero 0
	.end_amdhsa_kernel
	.section	.text._Z16wvSplitK_hf_big_I6__halfLi64ELi7ELi16ELi8ELi1ELi4EEviiPKT_S3_PS1_ii,"axG",@progbits,_Z16wvSplitK_hf_big_I6__halfLi64ELi7ELi16ELi8ELi1ELi4EEviiPKT_S3_PS1_ii,comdat
.Lfunc_end21:
	.size	_Z16wvSplitK_hf_big_I6__halfLi64ELi7ELi16ELi8ELi1ELi4EEviiPKT_S3_PS1_ii, .Lfunc_end21-_Z16wvSplitK_hf_big_I6__halfLi64ELi7ELi16ELi8ELi1ELi4EEviiPKT_S3_PS1_ii
                                        ; -- End function
	.set _Z16wvSplitK_hf_big_I6__halfLi64ELi7ELi16ELi8ELi1ELi4EEviiPKT_S3_PS1_ii.num_vgpr, max(3, .L__assert_fail.num_vgpr)
	.set _Z16wvSplitK_hf_big_I6__halfLi64ELi7ELi16ELi8ELi1ELi4EEviiPKT_S3_PS1_ii.num_agpr, max(0, .L__assert_fail.num_agpr)
	.set _Z16wvSplitK_hf_big_I6__halfLi64ELi7ELi16ELi8ELi1ELi4EEviiPKT_S3_PS1_ii.numbered_sgpr, max(33, .L__assert_fail.numbered_sgpr)
	.set _Z16wvSplitK_hf_big_I6__halfLi64ELi7ELi16ELi8ELi1ELi4EEviiPKT_S3_PS1_ii.num_named_barrier, max(0, .L__assert_fail.num_named_barrier)
	.set _Z16wvSplitK_hf_big_I6__halfLi64ELi7ELi16ELi8ELi1ELi4EEviiPKT_S3_PS1_ii.private_seg_size, 0+max(.L__assert_fail.private_seg_size)
	.set _Z16wvSplitK_hf_big_I6__halfLi64ELi7ELi16ELi8ELi1ELi4EEviiPKT_S3_PS1_ii.uses_vcc, or(1, .L__assert_fail.uses_vcc)
	.set _Z16wvSplitK_hf_big_I6__halfLi64ELi7ELi16ELi8ELi1ELi4EEviiPKT_S3_PS1_ii.uses_flat_scratch, or(1, .L__assert_fail.uses_flat_scratch)
	.set _Z16wvSplitK_hf_big_I6__halfLi64ELi7ELi16ELi8ELi1ELi4EEviiPKT_S3_PS1_ii.has_dyn_sized_stack, or(0, .L__assert_fail.has_dyn_sized_stack)
	.set _Z16wvSplitK_hf_big_I6__halfLi64ELi7ELi16ELi8ELi1ELi4EEviiPKT_S3_PS1_ii.has_recursion, or(0, .L__assert_fail.has_recursion)
	.set _Z16wvSplitK_hf_big_I6__halfLi64ELi7ELi16ELi8ELi1ELi4EEviiPKT_S3_PS1_ii.has_indirect_call, or(0, .L__assert_fail.has_indirect_call)
	.section	.AMDGPU.csdata,"",@progbits
; Kernel info:
; codeLenInByte = 96
; TotalNumSgprs: 36
; NumVgprs: 41
; ScratchSize: 64
; MemoryBound: 0
; FloatMode: 240
; IeeeMode: 1
; LDSByteSize: 0 bytes/workgroup (compile time only)
; SGPRBlocks: 0
; VGPRBlocks: 5
; NumSGPRsForWavesPerEU: 36
; NumVGPRsForWavesPerEU: 41
; Occupancy: 16
; WaveLimiterHint : 1
; COMPUTE_PGM_RSRC2:SCRATCH_EN: 1
; COMPUTE_PGM_RSRC2:USER_SGPR: 8
; COMPUTE_PGM_RSRC2:TRAP_HANDLER: 0
; COMPUTE_PGM_RSRC2:TGID_X_EN: 1
; COMPUTE_PGM_RSRC2:TGID_Y_EN: 0
; COMPUTE_PGM_RSRC2:TGID_Z_EN: 0
; COMPUTE_PGM_RSRC2:TIDIG_COMP_CNT: 0
	.section	.text._Z16wvSplitK_hf_sml_I14__hip_bfloat16Li64ELi2ELi16ELi8ELi2ELi1EEviiPKT_S3_PS1_ii,"axG",@progbits,_Z16wvSplitK_hf_sml_I14__hip_bfloat16Li64ELi2ELi16ELi8ELi2ELi1EEviiPKT_S3_PS1_ii,comdat
	.protected	_Z16wvSplitK_hf_sml_I14__hip_bfloat16Li64ELi2ELi16ELi8ELi2ELi1EEviiPKT_S3_PS1_ii ; -- Begin function _Z16wvSplitK_hf_sml_I14__hip_bfloat16Li64ELi2ELi16ELi8ELi2ELi1EEviiPKT_S3_PS1_ii
	.globl	_Z16wvSplitK_hf_sml_I14__hip_bfloat16Li64ELi2ELi16ELi8ELi2ELi1EEviiPKT_S3_PS1_ii
	.p2align	8
	.type	_Z16wvSplitK_hf_sml_I14__hip_bfloat16Li64ELi2ELi16ELi8ELi2ELi1EEviiPKT_S3_PS1_ii,@function
_Z16wvSplitK_hf_sml_I14__hip_bfloat16Li64ELi2ELi16ELi8ELi2ELi1EEviiPKT_S3_PS1_ii: ; @_Z16wvSplitK_hf_sml_I14__hip_bfloat16Li64ELi2ELi16ELi8ELi2ELi1EEviiPKT_S3_PS1_ii
; %bb.0:
	s_add_u32 s6, s6, s9
	s_mov_b32 s32, 0
	s_addc_u32 s7, s7, 0
	s_setreg_b32 hwreg(HW_REG_FLAT_SCR_LO), s6
	s_setreg_b32 hwreg(HW_REG_FLAT_SCR_HI), s7
	s_add_u32 s0, s0, s9
	s_addc_u32 s1, s1, 0
	s_add_u32 s8, s4, 40
	s_addc_u32 s9, s5, 0
	s_getpc_b64 s[4:5]
	s_add_u32 s4, s4, __PRETTY_FUNCTION__._Z16wvSplitK_hf_sml_I14__hip_bfloat16Li64ELi2ELi16ELi8ELi2ELi1EEviiPKT_S3_PS1_ii@rel32@lo+4
	s_addc_u32 s5, s5, __PRETTY_FUNCTION__._Z16wvSplitK_hf_sml_I14__hip_bfloat16Li64ELi2ELi16ELi8ELi2ELi1EEviiPKT_S3_PS1_ii@rel32@hi+12
	v_mov_b32_e32 v0, 0x224
	v_mov_b32_e32 v1, s4
	v_mov_b32_e32 v2, s5
	s_getpc_b64 s[6:7]
	s_add_u32 s6, s6, __assert_fail@rel32@lo+4
	s_addc_u32 s7, s7, __assert_fail@rel32@hi+12
	s_swappc_b64 s[30:31], s[6:7]
	.section	.rodata,"a",@progbits
	.p2align	6, 0x0
	.amdhsa_kernel _Z16wvSplitK_hf_sml_I14__hip_bfloat16Li64ELi2ELi16ELi8ELi2ELi1EEviiPKT_S3_PS1_ii
		.amdhsa_group_segment_fixed_size 0
		.amdhsa_private_segment_fixed_size 64
		.amdhsa_kernarg_size 296
		.amdhsa_user_sgpr_count 8
		.amdhsa_user_sgpr_private_segment_buffer 1
		.amdhsa_user_sgpr_dispatch_ptr 0
		.amdhsa_user_sgpr_queue_ptr 0
		.amdhsa_user_sgpr_kernarg_segment_ptr 1
		.amdhsa_user_sgpr_dispatch_id 0
		.amdhsa_user_sgpr_flat_scratch_init 1
		.amdhsa_user_sgpr_private_segment_size 0
		.amdhsa_wavefront_size32 1
		.amdhsa_uses_dynamic_stack 0
		.amdhsa_system_sgpr_private_segment_wavefront_offset 1
		.amdhsa_system_sgpr_workgroup_id_x 1
		.amdhsa_system_sgpr_workgroup_id_y 0
		.amdhsa_system_sgpr_workgroup_id_z 0
		.amdhsa_system_sgpr_workgroup_info 0
		.amdhsa_system_vgpr_workitem_id 0
		.amdhsa_next_free_vgpr 41
		.amdhsa_next_free_sgpr 34
		.amdhsa_reserve_vcc 1
		.amdhsa_reserve_flat_scratch 1
		.amdhsa_float_round_mode_32 0
		.amdhsa_float_round_mode_16_64 0
		.amdhsa_float_denorm_mode_32 3
		.amdhsa_float_denorm_mode_16_64 3
		.amdhsa_dx10_clamp 1
		.amdhsa_ieee_mode 1
		.amdhsa_fp16_overflow 0
		.amdhsa_workgroup_processor_mode 1
		.amdhsa_memory_ordered 1
		.amdhsa_forward_progress 1
		.amdhsa_shared_vgpr_count 0
		.amdhsa_exception_fp_ieee_invalid_op 0
		.amdhsa_exception_fp_denorm_src 0
		.amdhsa_exception_fp_ieee_div_zero 0
		.amdhsa_exception_fp_ieee_overflow 0
		.amdhsa_exception_fp_ieee_underflow 0
		.amdhsa_exception_fp_ieee_inexact 0
		.amdhsa_exception_int_div_zero 0
	.end_amdhsa_kernel
	.section	.text._Z16wvSplitK_hf_sml_I14__hip_bfloat16Li64ELi2ELi16ELi8ELi2ELi1EEviiPKT_S3_PS1_ii,"axG",@progbits,_Z16wvSplitK_hf_sml_I14__hip_bfloat16Li64ELi2ELi16ELi8ELi2ELi1EEviiPKT_S3_PS1_ii,comdat
.Lfunc_end22:
	.size	_Z16wvSplitK_hf_sml_I14__hip_bfloat16Li64ELi2ELi16ELi8ELi2ELi1EEviiPKT_S3_PS1_ii, .Lfunc_end22-_Z16wvSplitK_hf_sml_I14__hip_bfloat16Li64ELi2ELi16ELi8ELi2ELi1EEviiPKT_S3_PS1_ii
                                        ; -- End function
	.set _Z16wvSplitK_hf_sml_I14__hip_bfloat16Li64ELi2ELi16ELi8ELi2ELi1EEviiPKT_S3_PS1_ii.num_vgpr, max(3, .L__assert_fail.num_vgpr)
	.set _Z16wvSplitK_hf_sml_I14__hip_bfloat16Li64ELi2ELi16ELi8ELi2ELi1EEviiPKT_S3_PS1_ii.num_agpr, max(0, .L__assert_fail.num_agpr)
	.set _Z16wvSplitK_hf_sml_I14__hip_bfloat16Li64ELi2ELi16ELi8ELi2ELi1EEviiPKT_S3_PS1_ii.numbered_sgpr, max(33, .L__assert_fail.numbered_sgpr)
	.set _Z16wvSplitK_hf_sml_I14__hip_bfloat16Li64ELi2ELi16ELi8ELi2ELi1EEviiPKT_S3_PS1_ii.num_named_barrier, max(0, .L__assert_fail.num_named_barrier)
	.set _Z16wvSplitK_hf_sml_I14__hip_bfloat16Li64ELi2ELi16ELi8ELi2ELi1EEviiPKT_S3_PS1_ii.private_seg_size, 0+max(.L__assert_fail.private_seg_size)
	.set _Z16wvSplitK_hf_sml_I14__hip_bfloat16Li64ELi2ELi16ELi8ELi2ELi1EEviiPKT_S3_PS1_ii.uses_vcc, or(1, .L__assert_fail.uses_vcc)
	.set _Z16wvSplitK_hf_sml_I14__hip_bfloat16Li64ELi2ELi16ELi8ELi2ELi1EEviiPKT_S3_PS1_ii.uses_flat_scratch, or(1, .L__assert_fail.uses_flat_scratch)
	.set _Z16wvSplitK_hf_sml_I14__hip_bfloat16Li64ELi2ELi16ELi8ELi2ELi1EEviiPKT_S3_PS1_ii.has_dyn_sized_stack, or(0, .L__assert_fail.has_dyn_sized_stack)
	.set _Z16wvSplitK_hf_sml_I14__hip_bfloat16Li64ELi2ELi16ELi8ELi2ELi1EEviiPKT_S3_PS1_ii.has_recursion, or(0, .L__assert_fail.has_recursion)
	.set _Z16wvSplitK_hf_sml_I14__hip_bfloat16Li64ELi2ELi16ELi8ELi2ELi1EEviiPKT_S3_PS1_ii.has_indirect_call, or(0, .L__assert_fail.has_indirect_call)
	.section	.AMDGPU.csdata,"",@progbits
; Kernel info:
; codeLenInByte = 96
; TotalNumSgprs: 36
; NumVgprs: 41
; ScratchSize: 64
; MemoryBound: 0
; FloatMode: 240
; IeeeMode: 1
; LDSByteSize: 0 bytes/workgroup (compile time only)
; SGPRBlocks: 0
; VGPRBlocks: 5
; NumSGPRsForWavesPerEU: 36
; NumVGPRsForWavesPerEU: 41
; Occupancy: 16
; WaveLimiterHint : 1
; COMPUTE_PGM_RSRC2:SCRATCH_EN: 1
; COMPUTE_PGM_RSRC2:USER_SGPR: 8
; COMPUTE_PGM_RSRC2:TRAP_HANDLER: 0
; COMPUTE_PGM_RSRC2:TGID_X_EN: 1
; COMPUTE_PGM_RSRC2:TGID_Y_EN: 0
; COMPUTE_PGM_RSRC2:TGID_Z_EN: 0
; COMPUTE_PGM_RSRC2:TIDIG_COMP_CNT: 0
	.section	.text._Z12wvSplitK_hf_I14__hip_bfloat16Li64ELi2ELi16ELi8ELi2ELi1EEviiPKT_S3_PS1_ii,"axG",@progbits,_Z12wvSplitK_hf_I14__hip_bfloat16Li64ELi2ELi16ELi8ELi2ELi1EEviiPKT_S3_PS1_ii,comdat
	.protected	_Z12wvSplitK_hf_I14__hip_bfloat16Li64ELi2ELi16ELi8ELi2ELi1EEviiPKT_S3_PS1_ii ; -- Begin function _Z12wvSplitK_hf_I14__hip_bfloat16Li64ELi2ELi16ELi8ELi2ELi1EEviiPKT_S3_PS1_ii
	.globl	_Z12wvSplitK_hf_I14__hip_bfloat16Li64ELi2ELi16ELi8ELi2ELi1EEviiPKT_S3_PS1_ii
	.p2align	8
	.type	_Z12wvSplitK_hf_I14__hip_bfloat16Li64ELi2ELi16ELi8ELi2ELi1EEviiPKT_S3_PS1_ii,@function
_Z12wvSplitK_hf_I14__hip_bfloat16Li64ELi2ELi16ELi8ELi2ELi1EEviiPKT_S3_PS1_ii: ; @_Z12wvSplitK_hf_I14__hip_bfloat16Li64ELi2ELi16ELi8ELi2ELi1EEviiPKT_S3_PS1_ii
; %bb.0:
	s_add_u32 s6, s6, s9
	s_mov_b32 s32, 0
	s_addc_u32 s7, s7, 0
	s_setreg_b32 hwreg(HW_REG_FLAT_SCR_LO), s6
	s_setreg_b32 hwreg(HW_REG_FLAT_SCR_HI), s7
	s_add_u32 s0, s0, s9
	s_addc_u32 s1, s1, 0
	s_add_u32 s8, s4, 40
	s_addc_u32 s9, s5, 0
	s_getpc_b64 s[4:5]
	s_add_u32 s4, s4, __PRETTY_FUNCTION__._Z12wvSplitK_hf_I14__hip_bfloat16Li64ELi2ELi16ELi8ELi2ELi1EEviiPKT_S3_PS1_ii@rel32@lo+4
	s_addc_u32 s5, s5, __PRETTY_FUNCTION__._Z12wvSplitK_hf_I14__hip_bfloat16Li64ELi2ELi16ELi8ELi2ELi1EEviiPKT_S3_PS1_ii@rel32@hi+12
	v_mov_b32_e32 v0, 0x351
	v_mov_b32_e32 v1, s4
	;; [unrolled: 1-line block ×3, first 2 shown]
	s_getpc_b64 s[6:7]
	s_add_u32 s6, s6, __assert_fail@rel32@lo+4
	s_addc_u32 s7, s7, __assert_fail@rel32@hi+12
	s_swappc_b64 s[30:31], s[6:7]
	.section	.rodata,"a",@progbits
	.p2align	6, 0x0
	.amdhsa_kernel _Z12wvSplitK_hf_I14__hip_bfloat16Li64ELi2ELi16ELi8ELi2ELi1EEviiPKT_S3_PS1_ii
		.amdhsa_group_segment_fixed_size 0
		.amdhsa_private_segment_fixed_size 64
		.amdhsa_kernarg_size 296
		.amdhsa_user_sgpr_count 8
		.amdhsa_user_sgpr_private_segment_buffer 1
		.amdhsa_user_sgpr_dispatch_ptr 0
		.amdhsa_user_sgpr_queue_ptr 0
		.amdhsa_user_sgpr_kernarg_segment_ptr 1
		.amdhsa_user_sgpr_dispatch_id 0
		.amdhsa_user_sgpr_flat_scratch_init 1
		.amdhsa_user_sgpr_private_segment_size 0
		.amdhsa_wavefront_size32 1
		.amdhsa_uses_dynamic_stack 0
		.amdhsa_system_sgpr_private_segment_wavefront_offset 1
		.amdhsa_system_sgpr_workgroup_id_x 1
		.amdhsa_system_sgpr_workgroup_id_y 0
		.amdhsa_system_sgpr_workgroup_id_z 0
		.amdhsa_system_sgpr_workgroup_info 0
		.amdhsa_system_vgpr_workitem_id 0
		.amdhsa_next_free_vgpr 41
		.amdhsa_next_free_sgpr 34
		.amdhsa_reserve_vcc 1
		.amdhsa_reserve_flat_scratch 1
		.amdhsa_float_round_mode_32 0
		.amdhsa_float_round_mode_16_64 0
		.amdhsa_float_denorm_mode_32 3
		.amdhsa_float_denorm_mode_16_64 3
		.amdhsa_dx10_clamp 1
		.amdhsa_ieee_mode 1
		.amdhsa_fp16_overflow 0
		.amdhsa_workgroup_processor_mode 1
		.amdhsa_memory_ordered 1
		.amdhsa_forward_progress 1
		.amdhsa_shared_vgpr_count 0
		.amdhsa_exception_fp_ieee_invalid_op 0
		.amdhsa_exception_fp_denorm_src 0
		.amdhsa_exception_fp_ieee_div_zero 0
		.amdhsa_exception_fp_ieee_overflow 0
		.amdhsa_exception_fp_ieee_underflow 0
		.amdhsa_exception_fp_ieee_inexact 0
		.amdhsa_exception_int_div_zero 0
	.end_amdhsa_kernel
	.section	.text._Z12wvSplitK_hf_I14__hip_bfloat16Li64ELi2ELi16ELi8ELi2ELi1EEviiPKT_S3_PS1_ii,"axG",@progbits,_Z12wvSplitK_hf_I14__hip_bfloat16Li64ELi2ELi16ELi8ELi2ELi1EEviiPKT_S3_PS1_ii,comdat
.Lfunc_end23:
	.size	_Z12wvSplitK_hf_I14__hip_bfloat16Li64ELi2ELi16ELi8ELi2ELi1EEviiPKT_S3_PS1_ii, .Lfunc_end23-_Z12wvSplitK_hf_I14__hip_bfloat16Li64ELi2ELi16ELi8ELi2ELi1EEviiPKT_S3_PS1_ii
                                        ; -- End function
	.set _Z12wvSplitK_hf_I14__hip_bfloat16Li64ELi2ELi16ELi8ELi2ELi1EEviiPKT_S3_PS1_ii.num_vgpr, max(3, .L__assert_fail.num_vgpr)
	.set _Z12wvSplitK_hf_I14__hip_bfloat16Li64ELi2ELi16ELi8ELi2ELi1EEviiPKT_S3_PS1_ii.num_agpr, max(0, .L__assert_fail.num_agpr)
	.set _Z12wvSplitK_hf_I14__hip_bfloat16Li64ELi2ELi16ELi8ELi2ELi1EEviiPKT_S3_PS1_ii.numbered_sgpr, max(33, .L__assert_fail.numbered_sgpr)
	.set _Z12wvSplitK_hf_I14__hip_bfloat16Li64ELi2ELi16ELi8ELi2ELi1EEviiPKT_S3_PS1_ii.num_named_barrier, max(0, .L__assert_fail.num_named_barrier)
	.set _Z12wvSplitK_hf_I14__hip_bfloat16Li64ELi2ELi16ELi8ELi2ELi1EEviiPKT_S3_PS1_ii.private_seg_size, 0+max(.L__assert_fail.private_seg_size)
	.set _Z12wvSplitK_hf_I14__hip_bfloat16Li64ELi2ELi16ELi8ELi2ELi1EEviiPKT_S3_PS1_ii.uses_vcc, or(1, .L__assert_fail.uses_vcc)
	.set _Z12wvSplitK_hf_I14__hip_bfloat16Li64ELi2ELi16ELi8ELi2ELi1EEviiPKT_S3_PS1_ii.uses_flat_scratch, or(1, .L__assert_fail.uses_flat_scratch)
	.set _Z12wvSplitK_hf_I14__hip_bfloat16Li64ELi2ELi16ELi8ELi2ELi1EEviiPKT_S3_PS1_ii.has_dyn_sized_stack, or(0, .L__assert_fail.has_dyn_sized_stack)
	.set _Z12wvSplitK_hf_I14__hip_bfloat16Li64ELi2ELi16ELi8ELi2ELi1EEviiPKT_S3_PS1_ii.has_recursion, or(0, .L__assert_fail.has_recursion)
	.set _Z12wvSplitK_hf_I14__hip_bfloat16Li64ELi2ELi16ELi8ELi2ELi1EEviiPKT_S3_PS1_ii.has_indirect_call, or(0, .L__assert_fail.has_indirect_call)
	.section	.AMDGPU.csdata,"",@progbits
; Kernel info:
; codeLenInByte = 96
; TotalNumSgprs: 36
; NumVgprs: 41
; ScratchSize: 64
; MemoryBound: 0
; FloatMode: 240
; IeeeMode: 1
; LDSByteSize: 0 bytes/workgroup (compile time only)
; SGPRBlocks: 0
; VGPRBlocks: 5
; NumSGPRsForWavesPerEU: 36
; NumVGPRsForWavesPerEU: 41
; Occupancy: 16
; WaveLimiterHint : 1
; COMPUTE_PGM_RSRC2:SCRATCH_EN: 1
; COMPUTE_PGM_RSRC2:USER_SGPR: 8
; COMPUTE_PGM_RSRC2:TRAP_HANDLER: 0
; COMPUTE_PGM_RSRC2:TGID_X_EN: 1
; COMPUTE_PGM_RSRC2:TGID_Y_EN: 0
; COMPUTE_PGM_RSRC2:TGID_Z_EN: 0
; COMPUTE_PGM_RSRC2:TIDIG_COMP_CNT: 0
	.section	.text._Z16wvSplitK_hf_big_I14__hip_bfloat16Li64ELi2ELi16ELi8ELi2ELi1EEviiPKT_S3_PS1_ii,"axG",@progbits,_Z16wvSplitK_hf_big_I14__hip_bfloat16Li64ELi2ELi16ELi8ELi2ELi1EEviiPKT_S3_PS1_ii,comdat
	.protected	_Z16wvSplitK_hf_big_I14__hip_bfloat16Li64ELi2ELi16ELi8ELi2ELi1EEviiPKT_S3_PS1_ii ; -- Begin function _Z16wvSplitK_hf_big_I14__hip_bfloat16Li64ELi2ELi16ELi8ELi2ELi1EEviiPKT_S3_PS1_ii
	.globl	_Z16wvSplitK_hf_big_I14__hip_bfloat16Li64ELi2ELi16ELi8ELi2ELi1EEviiPKT_S3_PS1_ii
	.p2align	8
	.type	_Z16wvSplitK_hf_big_I14__hip_bfloat16Li64ELi2ELi16ELi8ELi2ELi1EEviiPKT_S3_PS1_ii,@function
_Z16wvSplitK_hf_big_I14__hip_bfloat16Li64ELi2ELi16ELi8ELi2ELi1EEviiPKT_S3_PS1_ii: ; @_Z16wvSplitK_hf_big_I14__hip_bfloat16Li64ELi2ELi16ELi8ELi2ELi1EEviiPKT_S3_PS1_ii
; %bb.0:
	s_add_u32 s6, s6, s9
	s_mov_b32 s32, 0
	s_addc_u32 s7, s7, 0
	s_setreg_b32 hwreg(HW_REG_FLAT_SCR_LO), s6
	s_setreg_b32 hwreg(HW_REG_FLAT_SCR_HI), s7
	s_add_u32 s0, s0, s9
	s_addc_u32 s1, s1, 0
	s_add_u32 s8, s4, 40
	s_addc_u32 s9, s5, 0
	s_getpc_b64 s[4:5]
	s_add_u32 s4, s4, __PRETTY_FUNCTION__._Z16wvSplitK_hf_big_I14__hip_bfloat16Li64ELi2ELi16ELi8ELi2ELi1EEviiPKT_S3_PS1_ii@rel32@lo+4
	s_addc_u32 s5, s5, __PRETTY_FUNCTION__._Z16wvSplitK_hf_big_I14__hip_bfloat16Li64ELi2ELi16ELi8ELi2ELi1EEviiPKT_S3_PS1_ii@rel32@hi+12
	v_mov_b32_e32 v0, 0x4ad
	v_mov_b32_e32 v1, s4
	;; [unrolled: 1-line block ×3, first 2 shown]
	s_getpc_b64 s[6:7]
	s_add_u32 s6, s6, __assert_fail@rel32@lo+4
	s_addc_u32 s7, s7, __assert_fail@rel32@hi+12
	s_swappc_b64 s[30:31], s[6:7]
	.section	.rodata,"a",@progbits
	.p2align	6, 0x0
	.amdhsa_kernel _Z16wvSplitK_hf_big_I14__hip_bfloat16Li64ELi2ELi16ELi8ELi2ELi1EEviiPKT_S3_PS1_ii
		.amdhsa_group_segment_fixed_size 0
		.amdhsa_private_segment_fixed_size 64
		.amdhsa_kernarg_size 296
		.amdhsa_user_sgpr_count 8
		.amdhsa_user_sgpr_private_segment_buffer 1
		.amdhsa_user_sgpr_dispatch_ptr 0
		.amdhsa_user_sgpr_queue_ptr 0
		.amdhsa_user_sgpr_kernarg_segment_ptr 1
		.amdhsa_user_sgpr_dispatch_id 0
		.amdhsa_user_sgpr_flat_scratch_init 1
		.amdhsa_user_sgpr_private_segment_size 0
		.amdhsa_wavefront_size32 1
		.amdhsa_uses_dynamic_stack 0
		.amdhsa_system_sgpr_private_segment_wavefront_offset 1
		.amdhsa_system_sgpr_workgroup_id_x 1
		.amdhsa_system_sgpr_workgroup_id_y 0
		.amdhsa_system_sgpr_workgroup_id_z 0
		.amdhsa_system_sgpr_workgroup_info 0
		.amdhsa_system_vgpr_workitem_id 0
		.amdhsa_next_free_vgpr 41
		.amdhsa_next_free_sgpr 34
		.amdhsa_reserve_vcc 1
		.amdhsa_reserve_flat_scratch 1
		.amdhsa_float_round_mode_32 0
		.amdhsa_float_round_mode_16_64 0
		.amdhsa_float_denorm_mode_32 3
		.amdhsa_float_denorm_mode_16_64 3
		.amdhsa_dx10_clamp 1
		.amdhsa_ieee_mode 1
		.amdhsa_fp16_overflow 0
		.amdhsa_workgroup_processor_mode 1
		.amdhsa_memory_ordered 1
		.amdhsa_forward_progress 1
		.amdhsa_shared_vgpr_count 0
		.amdhsa_exception_fp_ieee_invalid_op 0
		.amdhsa_exception_fp_denorm_src 0
		.amdhsa_exception_fp_ieee_div_zero 0
		.amdhsa_exception_fp_ieee_overflow 0
		.amdhsa_exception_fp_ieee_underflow 0
		.amdhsa_exception_fp_ieee_inexact 0
		.amdhsa_exception_int_div_zero 0
	.end_amdhsa_kernel
	.section	.text._Z16wvSplitK_hf_big_I14__hip_bfloat16Li64ELi2ELi16ELi8ELi2ELi1EEviiPKT_S3_PS1_ii,"axG",@progbits,_Z16wvSplitK_hf_big_I14__hip_bfloat16Li64ELi2ELi16ELi8ELi2ELi1EEviiPKT_S3_PS1_ii,comdat
.Lfunc_end24:
	.size	_Z16wvSplitK_hf_big_I14__hip_bfloat16Li64ELi2ELi16ELi8ELi2ELi1EEviiPKT_S3_PS1_ii, .Lfunc_end24-_Z16wvSplitK_hf_big_I14__hip_bfloat16Li64ELi2ELi16ELi8ELi2ELi1EEviiPKT_S3_PS1_ii
                                        ; -- End function
	.set _Z16wvSplitK_hf_big_I14__hip_bfloat16Li64ELi2ELi16ELi8ELi2ELi1EEviiPKT_S3_PS1_ii.num_vgpr, max(3, .L__assert_fail.num_vgpr)
	.set _Z16wvSplitK_hf_big_I14__hip_bfloat16Li64ELi2ELi16ELi8ELi2ELi1EEviiPKT_S3_PS1_ii.num_agpr, max(0, .L__assert_fail.num_agpr)
	.set _Z16wvSplitK_hf_big_I14__hip_bfloat16Li64ELi2ELi16ELi8ELi2ELi1EEviiPKT_S3_PS1_ii.numbered_sgpr, max(33, .L__assert_fail.numbered_sgpr)
	.set _Z16wvSplitK_hf_big_I14__hip_bfloat16Li64ELi2ELi16ELi8ELi2ELi1EEviiPKT_S3_PS1_ii.num_named_barrier, max(0, .L__assert_fail.num_named_barrier)
	.set _Z16wvSplitK_hf_big_I14__hip_bfloat16Li64ELi2ELi16ELi8ELi2ELi1EEviiPKT_S3_PS1_ii.private_seg_size, 0+max(.L__assert_fail.private_seg_size)
	.set _Z16wvSplitK_hf_big_I14__hip_bfloat16Li64ELi2ELi16ELi8ELi2ELi1EEviiPKT_S3_PS1_ii.uses_vcc, or(1, .L__assert_fail.uses_vcc)
	.set _Z16wvSplitK_hf_big_I14__hip_bfloat16Li64ELi2ELi16ELi8ELi2ELi1EEviiPKT_S3_PS1_ii.uses_flat_scratch, or(1, .L__assert_fail.uses_flat_scratch)
	.set _Z16wvSplitK_hf_big_I14__hip_bfloat16Li64ELi2ELi16ELi8ELi2ELi1EEviiPKT_S3_PS1_ii.has_dyn_sized_stack, or(0, .L__assert_fail.has_dyn_sized_stack)
	.set _Z16wvSplitK_hf_big_I14__hip_bfloat16Li64ELi2ELi16ELi8ELi2ELi1EEviiPKT_S3_PS1_ii.has_recursion, or(0, .L__assert_fail.has_recursion)
	.set _Z16wvSplitK_hf_big_I14__hip_bfloat16Li64ELi2ELi16ELi8ELi2ELi1EEviiPKT_S3_PS1_ii.has_indirect_call, or(0, .L__assert_fail.has_indirect_call)
	.section	.AMDGPU.csdata,"",@progbits
; Kernel info:
; codeLenInByte = 96
; TotalNumSgprs: 36
; NumVgprs: 41
; ScratchSize: 64
; MemoryBound: 0
; FloatMode: 240
; IeeeMode: 1
; LDSByteSize: 0 bytes/workgroup (compile time only)
; SGPRBlocks: 0
; VGPRBlocks: 5
; NumSGPRsForWavesPerEU: 36
; NumVGPRsForWavesPerEU: 41
; Occupancy: 16
; WaveLimiterHint : 1
; COMPUTE_PGM_RSRC2:SCRATCH_EN: 1
; COMPUTE_PGM_RSRC2:USER_SGPR: 8
; COMPUTE_PGM_RSRC2:TRAP_HANDLER: 0
; COMPUTE_PGM_RSRC2:TGID_X_EN: 1
; COMPUTE_PGM_RSRC2:TGID_Y_EN: 0
; COMPUTE_PGM_RSRC2:TGID_Z_EN: 0
; COMPUTE_PGM_RSRC2:TIDIG_COMP_CNT: 0
	.section	.text._Z16wvSplitK_hf_sml_I14__hip_bfloat16Li64ELi2ELi16ELi8ELi2ELi2EEviiPKT_S3_PS1_ii,"axG",@progbits,_Z16wvSplitK_hf_sml_I14__hip_bfloat16Li64ELi2ELi16ELi8ELi2ELi2EEviiPKT_S3_PS1_ii,comdat
	.protected	_Z16wvSplitK_hf_sml_I14__hip_bfloat16Li64ELi2ELi16ELi8ELi2ELi2EEviiPKT_S3_PS1_ii ; -- Begin function _Z16wvSplitK_hf_sml_I14__hip_bfloat16Li64ELi2ELi16ELi8ELi2ELi2EEviiPKT_S3_PS1_ii
	.globl	_Z16wvSplitK_hf_sml_I14__hip_bfloat16Li64ELi2ELi16ELi8ELi2ELi2EEviiPKT_S3_PS1_ii
	.p2align	8
	.type	_Z16wvSplitK_hf_sml_I14__hip_bfloat16Li64ELi2ELi16ELi8ELi2ELi2EEviiPKT_S3_PS1_ii,@function
_Z16wvSplitK_hf_sml_I14__hip_bfloat16Li64ELi2ELi16ELi8ELi2ELi2EEviiPKT_S3_PS1_ii: ; @_Z16wvSplitK_hf_sml_I14__hip_bfloat16Li64ELi2ELi16ELi8ELi2ELi2EEviiPKT_S3_PS1_ii
; %bb.0:
	s_add_u32 s6, s6, s9
	s_mov_b32 s32, 0
	s_addc_u32 s7, s7, 0
	s_setreg_b32 hwreg(HW_REG_FLAT_SCR_LO), s6
	s_setreg_b32 hwreg(HW_REG_FLAT_SCR_HI), s7
	s_add_u32 s0, s0, s9
	s_addc_u32 s1, s1, 0
	s_add_u32 s8, s4, 40
	s_addc_u32 s9, s5, 0
	s_getpc_b64 s[4:5]
	s_add_u32 s4, s4, __PRETTY_FUNCTION__._Z16wvSplitK_hf_sml_I14__hip_bfloat16Li64ELi2ELi16ELi8ELi2ELi2EEviiPKT_S3_PS1_ii@rel32@lo+4
	s_addc_u32 s5, s5, __PRETTY_FUNCTION__._Z16wvSplitK_hf_sml_I14__hip_bfloat16Li64ELi2ELi16ELi8ELi2ELi2EEviiPKT_S3_PS1_ii@rel32@hi+12
	v_mov_b32_e32 v0, 0x224
	v_mov_b32_e32 v1, s4
	;; [unrolled: 1-line block ×3, first 2 shown]
	s_getpc_b64 s[6:7]
	s_add_u32 s6, s6, __assert_fail@rel32@lo+4
	s_addc_u32 s7, s7, __assert_fail@rel32@hi+12
	s_swappc_b64 s[30:31], s[6:7]
	.section	.rodata,"a",@progbits
	.p2align	6, 0x0
	.amdhsa_kernel _Z16wvSplitK_hf_sml_I14__hip_bfloat16Li64ELi2ELi16ELi8ELi2ELi2EEviiPKT_S3_PS1_ii
		.amdhsa_group_segment_fixed_size 0
		.amdhsa_private_segment_fixed_size 64
		.amdhsa_kernarg_size 296
		.amdhsa_user_sgpr_count 8
		.amdhsa_user_sgpr_private_segment_buffer 1
		.amdhsa_user_sgpr_dispatch_ptr 0
		.amdhsa_user_sgpr_queue_ptr 0
		.amdhsa_user_sgpr_kernarg_segment_ptr 1
		.amdhsa_user_sgpr_dispatch_id 0
		.amdhsa_user_sgpr_flat_scratch_init 1
		.amdhsa_user_sgpr_private_segment_size 0
		.amdhsa_wavefront_size32 1
		.amdhsa_uses_dynamic_stack 0
		.amdhsa_system_sgpr_private_segment_wavefront_offset 1
		.amdhsa_system_sgpr_workgroup_id_x 1
		.amdhsa_system_sgpr_workgroup_id_y 0
		.amdhsa_system_sgpr_workgroup_id_z 0
		.amdhsa_system_sgpr_workgroup_info 0
		.amdhsa_system_vgpr_workitem_id 0
		.amdhsa_next_free_vgpr 41
		.amdhsa_next_free_sgpr 34
		.amdhsa_reserve_vcc 1
		.amdhsa_reserve_flat_scratch 1
		.amdhsa_float_round_mode_32 0
		.amdhsa_float_round_mode_16_64 0
		.amdhsa_float_denorm_mode_32 3
		.amdhsa_float_denorm_mode_16_64 3
		.amdhsa_dx10_clamp 1
		.amdhsa_ieee_mode 1
		.amdhsa_fp16_overflow 0
		.amdhsa_workgroup_processor_mode 1
		.amdhsa_memory_ordered 1
		.amdhsa_forward_progress 1
		.amdhsa_shared_vgpr_count 0
		.amdhsa_exception_fp_ieee_invalid_op 0
		.amdhsa_exception_fp_denorm_src 0
		.amdhsa_exception_fp_ieee_div_zero 0
		.amdhsa_exception_fp_ieee_overflow 0
		.amdhsa_exception_fp_ieee_underflow 0
		.amdhsa_exception_fp_ieee_inexact 0
		.amdhsa_exception_int_div_zero 0
	.end_amdhsa_kernel
	.section	.text._Z16wvSplitK_hf_sml_I14__hip_bfloat16Li64ELi2ELi16ELi8ELi2ELi2EEviiPKT_S3_PS1_ii,"axG",@progbits,_Z16wvSplitK_hf_sml_I14__hip_bfloat16Li64ELi2ELi16ELi8ELi2ELi2EEviiPKT_S3_PS1_ii,comdat
.Lfunc_end25:
	.size	_Z16wvSplitK_hf_sml_I14__hip_bfloat16Li64ELi2ELi16ELi8ELi2ELi2EEviiPKT_S3_PS1_ii, .Lfunc_end25-_Z16wvSplitK_hf_sml_I14__hip_bfloat16Li64ELi2ELi16ELi8ELi2ELi2EEviiPKT_S3_PS1_ii
                                        ; -- End function
	.set _Z16wvSplitK_hf_sml_I14__hip_bfloat16Li64ELi2ELi16ELi8ELi2ELi2EEviiPKT_S3_PS1_ii.num_vgpr, max(3, .L__assert_fail.num_vgpr)
	.set _Z16wvSplitK_hf_sml_I14__hip_bfloat16Li64ELi2ELi16ELi8ELi2ELi2EEviiPKT_S3_PS1_ii.num_agpr, max(0, .L__assert_fail.num_agpr)
	.set _Z16wvSplitK_hf_sml_I14__hip_bfloat16Li64ELi2ELi16ELi8ELi2ELi2EEviiPKT_S3_PS1_ii.numbered_sgpr, max(33, .L__assert_fail.numbered_sgpr)
	.set _Z16wvSplitK_hf_sml_I14__hip_bfloat16Li64ELi2ELi16ELi8ELi2ELi2EEviiPKT_S3_PS1_ii.num_named_barrier, max(0, .L__assert_fail.num_named_barrier)
	.set _Z16wvSplitK_hf_sml_I14__hip_bfloat16Li64ELi2ELi16ELi8ELi2ELi2EEviiPKT_S3_PS1_ii.private_seg_size, 0+max(.L__assert_fail.private_seg_size)
	.set _Z16wvSplitK_hf_sml_I14__hip_bfloat16Li64ELi2ELi16ELi8ELi2ELi2EEviiPKT_S3_PS1_ii.uses_vcc, or(1, .L__assert_fail.uses_vcc)
	.set _Z16wvSplitK_hf_sml_I14__hip_bfloat16Li64ELi2ELi16ELi8ELi2ELi2EEviiPKT_S3_PS1_ii.uses_flat_scratch, or(1, .L__assert_fail.uses_flat_scratch)
	.set _Z16wvSplitK_hf_sml_I14__hip_bfloat16Li64ELi2ELi16ELi8ELi2ELi2EEviiPKT_S3_PS1_ii.has_dyn_sized_stack, or(0, .L__assert_fail.has_dyn_sized_stack)
	.set _Z16wvSplitK_hf_sml_I14__hip_bfloat16Li64ELi2ELi16ELi8ELi2ELi2EEviiPKT_S3_PS1_ii.has_recursion, or(0, .L__assert_fail.has_recursion)
	.set _Z16wvSplitK_hf_sml_I14__hip_bfloat16Li64ELi2ELi16ELi8ELi2ELi2EEviiPKT_S3_PS1_ii.has_indirect_call, or(0, .L__assert_fail.has_indirect_call)
	.section	.AMDGPU.csdata,"",@progbits
; Kernel info:
; codeLenInByte = 96
; TotalNumSgprs: 36
; NumVgprs: 41
; ScratchSize: 64
; MemoryBound: 0
; FloatMode: 240
; IeeeMode: 1
; LDSByteSize: 0 bytes/workgroup (compile time only)
; SGPRBlocks: 0
; VGPRBlocks: 5
; NumSGPRsForWavesPerEU: 36
; NumVGPRsForWavesPerEU: 41
; Occupancy: 16
; WaveLimiterHint : 1
; COMPUTE_PGM_RSRC2:SCRATCH_EN: 1
; COMPUTE_PGM_RSRC2:USER_SGPR: 8
; COMPUTE_PGM_RSRC2:TRAP_HANDLER: 0
; COMPUTE_PGM_RSRC2:TGID_X_EN: 1
; COMPUTE_PGM_RSRC2:TGID_Y_EN: 0
; COMPUTE_PGM_RSRC2:TGID_Z_EN: 0
; COMPUTE_PGM_RSRC2:TIDIG_COMP_CNT: 0
	.section	.text._Z12wvSplitK_hf_I14__hip_bfloat16Li64ELi2ELi16ELi8ELi2ELi2EEviiPKT_S3_PS1_ii,"axG",@progbits,_Z12wvSplitK_hf_I14__hip_bfloat16Li64ELi2ELi16ELi8ELi2ELi2EEviiPKT_S3_PS1_ii,comdat
	.protected	_Z12wvSplitK_hf_I14__hip_bfloat16Li64ELi2ELi16ELi8ELi2ELi2EEviiPKT_S3_PS1_ii ; -- Begin function _Z12wvSplitK_hf_I14__hip_bfloat16Li64ELi2ELi16ELi8ELi2ELi2EEviiPKT_S3_PS1_ii
	.globl	_Z12wvSplitK_hf_I14__hip_bfloat16Li64ELi2ELi16ELi8ELi2ELi2EEviiPKT_S3_PS1_ii
	.p2align	8
	.type	_Z12wvSplitK_hf_I14__hip_bfloat16Li64ELi2ELi16ELi8ELi2ELi2EEviiPKT_S3_PS1_ii,@function
_Z12wvSplitK_hf_I14__hip_bfloat16Li64ELi2ELi16ELi8ELi2ELi2EEviiPKT_S3_PS1_ii: ; @_Z12wvSplitK_hf_I14__hip_bfloat16Li64ELi2ELi16ELi8ELi2ELi2EEviiPKT_S3_PS1_ii
; %bb.0:
	s_add_u32 s6, s6, s9
	s_mov_b32 s32, 0
	s_addc_u32 s7, s7, 0
	s_setreg_b32 hwreg(HW_REG_FLAT_SCR_LO), s6
	s_setreg_b32 hwreg(HW_REG_FLAT_SCR_HI), s7
	s_add_u32 s0, s0, s9
	s_addc_u32 s1, s1, 0
	s_add_u32 s8, s4, 40
	s_addc_u32 s9, s5, 0
	s_getpc_b64 s[4:5]
	s_add_u32 s4, s4, __PRETTY_FUNCTION__._Z12wvSplitK_hf_I14__hip_bfloat16Li64ELi2ELi16ELi8ELi2ELi2EEviiPKT_S3_PS1_ii@rel32@lo+4
	s_addc_u32 s5, s5, __PRETTY_FUNCTION__._Z12wvSplitK_hf_I14__hip_bfloat16Li64ELi2ELi16ELi8ELi2ELi2EEviiPKT_S3_PS1_ii@rel32@hi+12
	v_mov_b32_e32 v0, 0x351
	v_mov_b32_e32 v1, s4
	;; [unrolled: 1-line block ×3, first 2 shown]
	s_getpc_b64 s[6:7]
	s_add_u32 s6, s6, __assert_fail@rel32@lo+4
	s_addc_u32 s7, s7, __assert_fail@rel32@hi+12
	s_swappc_b64 s[30:31], s[6:7]
	.section	.rodata,"a",@progbits
	.p2align	6, 0x0
	.amdhsa_kernel _Z12wvSplitK_hf_I14__hip_bfloat16Li64ELi2ELi16ELi8ELi2ELi2EEviiPKT_S3_PS1_ii
		.amdhsa_group_segment_fixed_size 0
		.amdhsa_private_segment_fixed_size 64
		.amdhsa_kernarg_size 296
		.amdhsa_user_sgpr_count 8
		.amdhsa_user_sgpr_private_segment_buffer 1
		.amdhsa_user_sgpr_dispatch_ptr 0
		.amdhsa_user_sgpr_queue_ptr 0
		.amdhsa_user_sgpr_kernarg_segment_ptr 1
		.amdhsa_user_sgpr_dispatch_id 0
		.amdhsa_user_sgpr_flat_scratch_init 1
		.amdhsa_user_sgpr_private_segment_size 0
		.amdhsa_wavefront_size32 1
		.amdhsa_uses_dynamic_stack 0
		.amdhsa_system_sgpr_private_segment_wavefront_offset 1
		.amdhsa_system_sgpr_workgroup_id_x 1
		.amdhsa_system_sgpr_workgroup_id_y 0
		.amdhsa_system_sgpr_workgroup_id_z 0
		.amdhsa_system_sgpr_workgroup_info 0
		.amdhsa_system_vgpr_workitem_id 0
		.amdhsa_next_free_vgpr 41
		.amdhsa_next_free_sgpr 34
		.amdhsa_reserve_vcc 1
		.amdhsa_reserve_flat_scratch 1
		.amdhsa_float_round_mode_32 0
		.amdhsa_float_round_mode_16_64 0
		.amdhsa_float_denorm_mode_32 3
		.amdhsa_float_denorm_mode_16_64 3
		.amdhsa_dx10_clamp 1
		.amdhsa_ieee_mode 1
		.amdhsa_fp16_overflow 0
		.amdhsa_workgroup_processor_mode 1
		.amdhsa_memory_ordered 1
		.amdhsa_forward_progress 1
		.amdhsa_shared_vgpr_count 0
		.amdhsa_exception_fp_ieee_invalid_op 0
		.amdhsa_exception_fp_denorm_src 0
		.amdhsa_exception_fp_ieee_div_zero 0
		.amdhsa_exception_fp_ieee_overflow 0
		.amdhsa_exception_fp_ieee_underflow 0
		.amdhsa_exception_fp_ieee_inexact 0
		.amdhsa_exception_int_div_zero 0
	.end_amdhsa_kernel
	.section	.text._Z12wvSplitK_hf_I14__hip_bfloat16Li64ELi2ELi16ELi8ELi2ELi2EEviiPKT_S3_PS1_ii,"axG",@progbits,_Z12wvSplitK_hf_I14__hip_bfloat16Li64ELi2ELi16ELi8ELi2ELi2EEviiPKT_S3_PS1_ii,comdat
.Lfunc_end26:
	.size	_Z12wvSplitK_hf_I14__hip_bfloat16Li64ELi2ELi16ELi8ELi2ELi2EEviiPKT_S3_PS1_ii, .Lfunc_end26-_Z12wvSplitK_hf_I14__hip_bfloat16Li64ELi2ELi16ELi8ELi2ELi2EEviiPKT_S3_PS1_ii
                                        ; -- End function
	.set _Z12wvSplitK_hf_I14__hip_bfloat16Li64ELi2ELi16ELi8ELi2ELi2EEviiPKT_S3_PS1_ii.num_vgpr, max(3, .L__assert_fail.num_vgpr)
	.set _Z12wvSplitK_hf_I14__hip_bfloat16Li64ELi2ELi16ELi8ELi2ELi2EEviiPKT_S3_PS1_ii.num_agpr, max(0, .L__assert_fail.num_agpr)
	.set _Z12wvSplitK_hf_I14__hip_bfloat16Li64ELi2ELi16ELi8ELi2ELi2EEviiPKT_S3_PS1_ii.numbered_sgpr, max(33, .L__assert_fail.numbered_sgpr)
	.set _Z12wvSplitK_hf_I14__hip_bfloat16Li64ELi2ELi16ELi8ELi2ELi2EEviiPKT_S3_PS1_ii.num_named_barrier, max(0, .L__assert_fail.num_named_barrier)
	.set _Z12wvSplitK_hf_I14__hip_bfloat16Li64ELi2ELi16ELi8ELi2ELi2EEviiPKT_S3_PS1_ii.private_seg_size, 0+max(.L__assert_fail.private_seg_size)
	.set _Z12wvSplitK_hf_I14__hip_bfloat16Li64ELi2ELi16ELi8ELi2ELi2EEviiPKT_S3_PS1_ii.uses_vcc, or(1, .L__assert_fail.uses_vcc)
	.set _Z12wvSplitK_hf_I14__hip_bfloat16Li64ELi2ELi16ELi8ELi2ELi2EEviiPKT_S3_PS1_ii.uses_flat_scratch, or(1, .L__assert_fail.uses_flat_scratch)
	.set _Z12wvSplitK_hf_I14__hip_bfloat16Li64ELi2ELi16ELi8ELi2ELi2EEviiPKT_S3_PS1_ii.has_dyn_sized_stack, or(0, .L__assert_fail.has_dyn_sized_stack)
	.set _Z12wvSplitK_hf_I14__hip_bfloat16Li64ELi2ELi16ELi8ELi2ELi2EEviiPKT_S3_PS1_ii.has_recursion, or(0, .L__assert_fail.has_recursion)
	.set _Z12wvSplitK_hf_I14__hip_bfloat16Li64ELi2ELi16ELi8ELi2ELi2EEviiPKT_S3_PS1_ii.has_indirect_call, or(0, .L__assert_fail.has_indirect_call)
	.section	.AMDGPU.csdata,"",@progbits
; Kernel info:
; codeLenInByte = 96
; TotalNumSgprs: 36
; NumVgprs: 41
; ScratchSize: 64
; MemoryBound: 0
; FloatMode: 240
; IeeeMode: 1
; LDSByteSize: 0 bytes/workgroup (compile time only)
; SGPRBlocks: 0
; VGPRBlocks: 5
; NumSGPRsForWavesPerEU: 36
; NumVGPRsForWavesPerEU: 41
; Occupancy: 16
; WaveLimiterHint : 1
; COMPUTE_PGM_RSRC2:SCRATCH_EN: 1
; COMPUTE_PGM_RSRC2:USER_SGPR: 8
; COMPUTE_PGM_RSRC2:TRAP_HANDLER: 0
; COMPUTE_PGM_RSRC2:TGID_X_EN: 1
; COMPUTE_PGM_RSRC2:TGID_Y_EN: 0
; COMPUTE_PGM_RSRC2:TGID_Z_EN: 0
; COMPUTE_PGM_RSRC2:TIDIG_COMP_CNT: 0
	.section	.text._Z16wvSplitK_hf_big_I14__hip_bfloat16Li64ELi2ELi16ELi8ELi2ELi2EEviiPKT_S3_PS1_ii,"axG",@progbits,_Z16wvSplitK_hf_big_I14__hip_bfloat16Li64ELi2ELi16ELi8ELi2ELi2EEviiPKT_S3_PS1_ii,comdat
	.protected	_Z16wvSplitK_hf_big_I14__hip_bfloat16Li64ELi2ELi16ELi8ELi2ELi2EEviiPKT_S3_PS1_ii ; -- Begin function _Z16wvSplitK_hf_big_I14__hip_bfloat16Li64ELi2ELi16ELi8ELi2ELi2EEviiPKT_S3_PS1_ii
	.globl	_Z16wvSplitK_hf_big_I14__hip_bfloat16Li64ELi2ELi16ELi8ELi2ELi2EEviiPKT_S3_PS1_ii
	.p2align	8
	.type	_Z16wvSplitK_hf_big_I14__hip_bfloat16Li64ELi2ELi16ELi8ELi2ELi2EEviiPKT_S3_PS1_ii,@function
_Z16wvSplitK_hf_big_I14__hip_bfloat16Li64ELi2ELi16ELi8ELi2ELi2EEviiPKT_S3_PS1_ii: ; @_Z16wvSplitK_hf_big_I14__hip_bfloat16Li64ELi2ELi16ELi8ELi2ELi2EEviiPKT_S3_PS1_ii
; %bb.0:
	s_add_u32 s6, s6, s9
	s_mov_b32 s32, 0
	s_addc_u32 s7, s7, 0
	s_setreg_b32 hwreg(HW_REG_FLAT_SCR_LO), s6
	s_setreg_b32 hwreg(HW_REG_FLAT_SCR_HI), s7
	s_add_u32 s0, s0, s9
	s_addc_u32 s1, s1, 0
	s_add_u32 s8, s4, 40
	s_addc_u32 s9, s5, 0
	s_getpc_b64 s[4:5]
	s_add_u32 s4, s4, __PRETTY_FUNCTION__._Z16wvSplitK_hf_big_I14__hip_bfloat16Li64ELi2ELi16ELi8ELi2ELi2EEviiPKT_S3_PS1_ii@rel32@lo+4
	s_addc_u32 s5, s5, __PRETTY_FUNCTION__._Z16wvSplitK_hf_big_I14__hip_bfloat16Li64ELi2ELi16ELi8ELi2ELi2EEviiPKT_S3_PS1_ii@rel32@hi+12
	v_mov_b32_e32 v0, 0x4ad
	v_mov_b32_e32 v1, s4
	v_mov_b32_e32 v2, s5
	s_getpc_b64 s[6:7]
	s_add_u32 s6, s6, __assert_fail@rel32@lo+4
	s_addc_u32 s7, s7, __assert_fail@rel32@hi+12
	s_swappc_b64 s[30:31], s[6:7]
	.section	.rodata,"a",@progbits
	.p2align	6, 0x0
	.amdhsa_kernel _Z16wvSplitK_hf_big_I14__hip_bfloat16Li64ELi2ELi16ELi8ELi2ELi2EEviiPKT_S3_PS1_ii
		.amdhsa_group_segment_fixed_size 0
		.amdhsa_private_segment_fixed_size 64
		.amdhsa_kernarg_size 296
		.amdhsa_user_sgpr_count 8
		.amdhsa_user_sgpr_private_segment_buffer 1
		.amdhsa_user_sgpr_dispatch_ptr 0
		.amdhsa_user_sgpr_queue_ptr 0
		.amdhsa_user_sgpr_kernarg_segment_ptr 1
		.amdhsa_user_sgpr_dispatch_id 0
		.amdhsa_user_sgpr_flat_scratch_init 1
		.amdhsa_user_sgpr_private_segment_size 0
		.amdhsa_wavefront_size32 1
		.amdhsa_uses_dynamic_stack 0
		.amdhsa_system_sgpr_private_segment_wavefront_offset 1
		.amdhsa_system_sgpr_workgroup_id_x 1
		.amdhsa_system_sgpr_workgroup_id_y 0
		.amdhsa_system_sgpr_workgroup_id_z 0
		.amdhsa_system_sgpr_workgroup_info 0
		.amdhsa_system_vgpr_workitem_id 0
		.amdhsa_next_free_vgpr 41
		.amdhsa_next_free_sgpr 34
		.amdhsa_reserve_vcc 1
		.amdhsa_reserve_flat_scratch 1
		.amdhsa_float_round_mode_32 0
		.amdhsa_float_round_mode_16_64 0
		.amdhsa_float_denorm_mode_32 3
		.amdhsa_float_denorm_mode_16_64 3
		.amdhsa_dx10_clamp 1
		.amdhsa_ieee_mode 1
		.amdhsa_fp16_overflow 0
		.amdhsa_workgroup_processor_mode 1
		.amdhsa_memory_ordered 1
		.amdhsa_forward_progress 1
		.amdhsa_shared_vgpr_count 0
		.amdhsa_exception_fp_ieee_invalid_op 0
		.amdhsa_exception_fp_denorm_src 0
		.amdhsa_exception_fp_ieee_div_zero 0
		.amdhsa_exception_fp_ieee_overflow 0
		.amdhsa_exception_fp_ieee_underflow 0
		.amdhsa_exception_fp_ieee_inexact 0
		.amdhsa_exception_int_div_zero 0
	.end_amdhsa_kernel
	.section	.text._Z16wvSplitK_hf_big_I14__hip_bfloat16Li64ELi2ELi16ELi8ELi2ELi2EEviiPKT_S3_PS1_ii,"axG",@progbits,_Z16wvSplitK_hf_big_I14__hip_bfloat16Li64ELi2ELi16ELi8ELi2ELi2EEviiPKT_S3_PS1_ii,comdat
.Lfunc_end27:
	.size	_Z16wvSplitK_hf_big_I14__hip_bfloat16Li64ELi2ELi16ELi8ELi2ELi2EEviiPKT_S3_PS1_ii, .Lfunc_end27-_Z16wvSplitK_hf_big_I14__hip_bfloat16Li64ELi2ELi16ELi8ELi2ELi2EEviiPKT_S3_PS1_ii
                                        ; -- End function
	.set _Z16wvSplitK_hf_big_I14__hip_bfloat16Li64ELi2ELi16ELi8ELi2ELi2EEviiPKT_S3_PS1_ii.num_vgpr, max(3, .L__assert_fail.num_vgpr)
	.set _Z16wvSplitK_hf_big_I14__hip_bfloat16Li64ELi2ELi16ELi8ELi2ELi2EEviiPKT_S3_PS1_ii.num_agpr, max(0, .L__assert_fail.num_agpr)
	.set _Z16wvSplitK_hf_big_I14__hip_bfloat16Li64ELi2ELi16ELi8ELi2ELi2EEviiPKT_S3_PS1_ii.numbered_sgpr, max(33, .L__assert_fail.numbered_sgpr)
	.set _Z16wvSplitK_hf_big_I14__hip_bfloat16Li64ELi2ELi16ELi8ELi2ELi2EEviiPKT_S3_PS1_ii.num_named_barrier, max(0, .L__assert_fail.num_named_barrier)
	.set _Z16wvSplitK_hf_big_I14__hip_bfloat16Li64ELi2ELi16ELi8ELi2ELi2EEviiPKT_S3_PS1_ii.private_seg_size, 0+max(.L__assert_fail.private_seg_size)
	.set _Z16wvSplitK_hf_big_I14__hip_bfloat16Li64ELi2ELi16ELi8ELi2ELi2EEviiPKT_S3_PS1_ii.uses_vcc, or(1, .L__assert_fail.uses_vcc)
	.set _Z16wvSplitK_hf_big_I14__hip_bfloat16Li64ELi2ELi16ELi8ELi2ELi2EEviiPKT_S3_PS1_ii.uses_flat_scratch, or(1, .L__assert_fail.uses_flat_scratch)
	.set _Z16wvSplitK_hf_big_I14__hip_bfloat16Li64ELi2ELi16ELi8ELi2ELi2EEviiPKT_S3_PS1_ii.has_dyn_sized_stack, or(0, .L__assert_fail.has_dyn_sized_stack)
	.set _Z16wvSplitK_hf_big_I14__hip_bfloat16Li64ELi2ELi16ELi8ELi2ELi2EEviiPKT_S3_PS1_ii.has_recursion, or(0, .L__assert_fail.has_recursion)
	.set _Z16wvSplitK_hf_big_I14__hip_bfloat16Li64ELi2ELi16ELi8ELi2ELi2EEviiPKT_S3_PS1_ii.has_indirect_call, or(0, .L__assert_fail.has_indirect_call)
	.section	.AMDGPU.csdata,"",@progbits
; Kernel info:
; codeLenInByte = 96
; TotalNumSgprs: 36
; NumVgprs: 41
; ScratchSize: 64
; MemoryBound: 0
; FloatMode: 240
; IeeeMode: 1
; LDSByteSize: 0 bytes/workgroup (compile time only)
; SGPRBlocks: 0
; VGPRBlocks: 5
; NumSGPRsForWavesPerEU: 36
; NumVGPRsForWavesPerEU: 41
; Occupancy: 16
; WaveLimiterHint : 1
; COMPUTE_PGM_RSRC2:SCRATCH_EN: 1
; COMPUTE_PGM_RSRC2:USER_SGPR: 8
; COMPUTE_PGM_RSRC2:TRAP_HANDLER: 0
; COMPUTE_PGM_RSRC2:TGID_X_EN: 1
; COMPUTE_PGM_RSRC2:TGID_Y_EN: 0
; COMPUTE_PGM_RSRC2:TGID_Z_EN: 0
; COMPUTE_PGM_RSRC2:TIDIG_COMP_CNT: 0
	.section	.text._Z16wvSplitK_hf_sml_I14__hip_bfloat16Li64ELi4ELi16ELi8ELi1ELi3EEviiPKT_S3_PS1_ii,"axG",@progbits,_Z16wvSplitK_hf_sml_I14__hip_bfloat16Li64ELi4ELi16ELi8ELi1ELi3EEviiPKT_S3_PS1_ii,comdat
	.protected	_Z16wvSplitK_hf_sml_I14__hip_bfloat16Li64ELi4ELi16ELi8ELi1ELi3EEviiPKT_S3_PS1_ii ; -- Begin function _Z16wvSplitK_hf_sml_I14__hip_bfloat16Li64ELi4ELi16ELi8ELi1ELi3EEviiPKT_S3_PS1_ii
	.globl	_Z16wvSplitK_hf_sml_I14__hip_bfloat16Li64ELi4ELi16ELi8ELi1ELi3EEviiPKT_S3_PS1_ii
	.p2align	8
	.type	_Z16wvSplitK_hf_sml_I14__hip_bfloat16Li64ELi4ELi16ELi8ELi1ELi3EEviiPKT_S3_PS1_ii,@function
_Z16wvSplitK_hf_sml_I14__hip_bfloat16Li64ELi4ELi16ELi8ELi1ELi3EEviiPKT_S3_PS1_ii: ; @_Z16wvSplitK_hf_sml_I14__hip_bfloat16Li64ELi4ELi16ELi8ELi1ELi3EEviiPKT_S3_PS1_ii
; %bb.0:
	s_add_u32 s6, s6, s9
	s_mov_b32 s32, 0
	s_addc_u32 s7, s7, 0
	s_setreg_b32 hwreg(HW_REG_FLAT_SCR_LO), s6
	s_setreg_b32 hwreg(HW_REG_FLAT_SCR_HI), s7
	s_add_u32 s0, s0, s9
	s_addc_u32 s1, s1, 0
	s_add_u32 s8, s4, 40
	s_addc_u32 s9, s5, 0
	s_getpc_b64 s[4:5]
	s_add_u32 s4, s4, __PRETTY_FUNCTION__._Z16wvSplitK_hf_sml_I14__hip_bfloat16Li64ELi4ELi16ELi8ELi1ELi3EEviiPKT_S3_PS1_ii@rel32@lo+4
	s_addc_u32 s5, s5, __PRETTY_FUNCTION__._Z16wvSplitK_hf_sml_I14__hip_bfloat16Li64ELi4ELi16ELi8ELi1ELi3EEviiPKT_S3_PS1_ii@rel32@hi+12
	v_mov_b32_e32 v0, 0x224
	v_mov_b32_e32 v1, s4
	;; [unrolled: 1-line block ×3, first 2 shown]
	s_getpc_b64 s[6:7]
	s_add_u32 s6, s6, __assert_fail@rel32@lo+4
	s_addc_u32 s7, s7, __assert_fail@rel32@hi+12
	s_swappc_b64 s[30:31], s[6:7]
	.section	.rodata,"a",@progbits
	.p2align	6, 0x0
	.amdhsa_kernel _Z16wvSplitK_hf_sml_I14__hip_bfloat16Li64ELi4ELi16ELi8ELi1ELi3EEviiPKT_S3_PS1_ii
		.amdhsa_group_segment_fixed_size 0
		.amdhsa_private_segment_fixed_size 64
		.amdhsa_kernarg_size 296
		.amdhsa_user_sgpr_count 8
		.amdhsa_user_sgpr_private_segment_buffer 1
		.amdhsa_user_sgpr_dispatch_ptr 0
		.amdhsa_user_sgpr_queue_ptr 0
		.amdhsa_user_sgpr_kernarg_segment_ptr 1
		.amdhsa_user_sgpr_dispatch_id 0
		.amdhsa_user_sgpr_flat_scratch_init 1
		.amdhsa_user_sgpr_private_segment_size 0
		.amdhsa_wavefront_size32 1
		.amdhsa_uses_dynamic_stack 0
		.amdhsa_system_sgpr_private_segment_wavefront_offset 1
		.amdhsa_system_sgpr_workgroup_id_x 1
		.amdhsa_system_sgpr_workgroup_id_y 0
		.amdhsa_system_sgpr_workgroup_id_z 0
		.amdhsa_system_sgpr_workgroup_info 0
		.amdhsa_system_vgpr_workitem_id 0
		.amdhsa_next_free_vgpr 41
		.amdhsa_next_free_sgpr 34
		.amdhsa_reserve_vcc 1
		.amdhsa_reserve_flat_scratch 1
		.amdhsa_float_round_mode_32 0
		.amdhsa_float_round_mode_16_64 0
		.amdhsa_float_denorm_mode_32 3
		.amdhsa_float_denorm_mode_16_64 3
		.amdhsa_dx10_clamp 1
		.amdhsa_ieee_mode 1
		.amdhsa_fp16_overflow 0
		.amdhsa_workgroup_processor_mode 1
		.amdhsa_memory_ordered 1
		.amdhsa_forward_progress 1
		.amdhsa_shared_vgpr_count 0
		.amdhsa_exception_fp_ieee_invalid_op 0
		.amdhsa_exception_fp_denorm_src 0
		.amdhsa_exception_fp_ieee_div_zero 0
		.amdhsa_exception_fp_ieee_overflow 0
		.amdhsa_exception_fp_ieee_underflow 0
		.amdhsa_exception_fp_ieee_inexact 0
		.amdhsa_exception_int_div_zero 0
	.end_amdhsa_kernel
	.section	.text._Z16wvSplitK_hf_sml_I14__hip_bfloat16Li64ELi4ELi16ELi8ELi1ELi3EEviiPKT_S3_PS1_ii,"axG",@progbits,_Z16wvSplitK_hf_sml_I14__hip_bfloat16Li64ELi4ELi16ELi8ELi1ELi3EEviiPKT_S3_PS1_ii,comdat
.Lfunc_end28:
	.size	_Z16wvSplitK_hf_sml_I14__hip_bfloat16Li64ELi4ELi16ELi8ELi1ELi3EEviiPKT_S3_PS1_ii, .Lfunc_end28-_Z16wvSplitK_hf_sml_I14__hip_bfloat16Li64ELi4ELi16ELi8ELi1ELi3EEviiPKT_S3_PS1_ii
                                        ; -- End function
	.set _Z16wvSplitK_hf_sml_I14__hip_bfloat16Li64ELi4ELi16ELi8ELi1ELi3EEviiPKT_S3_PS1_ii.num_vgpr, max(3, .L__assert_fail.num_vgpr)
	.set _Z16wvSplitK_hf_sml_I14__hip_bfloat16Li64ELi4ELi16ELi8ELi1ELi3EEviiPKT_S3_PS1_ii.num_agpr, max(0, .L__assert_fail.num_agpr)
	.set _Z16wvSplitK_hf_sml_I14__hip_bfloat16Li64ELi4ELi16ELi8ELi1ELi3EEviiPKT_S3_PS1_ii.numbered_sgpr, max(33, .L__assert_fail.numbered_sgpr)
	.set _Z16wvSplitK_hf_sml_I14__hip_bfloat16Li64ELi4ELi16ELi8ELi1ELi3EEviiPKT_S3_PS1_ii.num_named_barrier, max(0, .L__assert_fail.num_named_barrier)
	.set _Z16wvSplitK_hf_sml_I14__hip_bfloat16Li64ELi4ELi16ELi8ELi1ELi3EEviiPKT_S3_PS1_ii.private_seg_size, 0+max(.L__assert_fail.private_seg_size)
	.set _Z16wvSplitK_hf_sml_I14__hip_bfloat16Li64ELi4ELi16ELi8ELi1ELi3EEviiPKT_S3_PS1_ii.uses_vcc, or(1, .L__assert_fail.uses_vcc)
	.set _Z16wvSplitK_hf_sml_I14__hip_bfloat16Li64ELi4ELi16ELi8ELi1ELi3EEviiPKT_S3_PS1_ii.uses_flat_scratch, or(1, .L__assert_fail.uses_flat_scratch)
	.set _Z16wvSplitK_hf_sml_I14__hip_bfloat16Li64ELi4ELi16ELi8ELi1ELi3EEviiPKT_S3_PS1_ii.has_dyn_sized_stack, or(0, .L__assert_fail.has_dyn_sized_stack)
	.set _Z16wvSplitK_hf_sml_I14__hip_bfloat16Li64ELi4ELi16ELi8ELi1ELi3EEviiPKT_S3_PS1_ii.has_recursion, or(0, .L__assert_fail.has_recursion)
	.set _Z16wvSplitK_hf_sml_I14__hip_bfloat16Li64ELi4ELi16ELi8ELi1ELi3EEviiPKT_S3_PS1_ii.has_indirect_call, or(0, .L__assert_fail.has_indirect_call)
	.section	.AMDGPU.csdata,"",@progbits
; Kernel info:
; codeLenInByte = 96
; TotalNumSgprs: 36
; NumVgprs: 41
; ScratchSize: 64
; MemoryBound: 0
; FloatMode: 240
; IeeeMode: 1
; LDSByteSize: 0 bytes/workgroup (compile time only)
; SGPRBlocks: 0
; VGPRBlocks: 5
; NumSGPRsForWavesPerEU: 36
; NumVGPRsForWavesPerEU: 41
; Occupancy: 16
; WaveLimiterHint : 1
; COMPUTE_PGM_RSRC2:SCRATCH_EN: 1
; COMPUTE_PGM_RSRC2:USER_SGPR: 8
; COMPUTE_PGM_RSRC2:TRAP_HANDLER: 0
; COMPUTE_PGM_RSRC2:TGID_X_EN: 1
; COMPUTE_PGM_RSRC2:TGID_Y_EN: 0
; COMPUTE_PGM_RSRC2:TGID_Z_EN: 0
; COMPUTE_PGM_RSRC2:TIDIG_COMP_CNT: 0
	.section	.text._Z12wvSplitK_hf_I14__hip_bfloat16Li64ELi7ELi16ELi8ELi1ELi3EEviiPKT_S3_PS1_ii,"axG",@progbits,_Z12wvSplitK_hf_I14__hip_bfloat16Li64ELi7ELi16ELi8ELi1ELi3EEviiPKT_S3_PS1_ii,comdat
	.protected	_Z12wvSplitK_hf_I14__hip_bfloat16Li64ELi7ELi16ELi8ELi1ELi3EEviiPKT_S3_PS1_ii ; -- Begin function _Z12wvSplitK_hf_I14__hip_bfloat16Li64ELi7ELi16ELi8ELi1ELi3EEviiPKT_S3_PS1_ii
	.globl	_Z12wvSplitK_hf_I14__hip_bfloat16Li64ELi7ELi16ELi8ELi1ELi3EEviiPKT_S3_PS1_ii
	.p2align	8
	.type	_Z12wvSplitK_hf_I14__hip_bfloat16Li64ELi7ELi16ELi8ELi1ELi3EEviiPKT_S3_PS1_ii,@function
_Z12wvSplitK_hf_I14__hip_bfloat16Li64ELi7ELi16ELi8ELi1ELi3EEviiPKT_S3_PS1_ii: ; @_Z12wvSplitK_hf_I14__hip_bfloat16Li64ELi7ELi16ELi8ELi1ELi3EEviiPKT_S3_PS1_ii
; %bb.0:
	s_add_u32 s6, s6, s9
	s_mov_b32 s32, 0
	s_addc_u32 s7, s7, 0
	s_setreg_b32 hwreg(HW_REG_FLAT_SCR_LO), s6
	s_setreg_b32 hwreg(HW_REG_FLAT_SCR_HI), s7
	s_add_u32 s0, s0, s9
	s_addc_u32 s1, s1, 0
	s_add_u32 s8, s4, 40
	s_addc_u32 s9, s5, 0
	s_getpc_b64 s[4:5]
	s_add_u32 s4, s4, __PRETTY_FUNCTION__._Z12wvSplitK_hf_I14__hip_bfloat16Li64ELi7ELi16ELi8ELi1ELi3EEviiPKT_S3_PS1_ii@rel32@lo+4
	s_addc_u32 s5, s5, __PRETTY_FUNCTION__._Z12wvSplitK_hf_I14__hip_bfloat16Li64ELi7ELi16ELi8ELi1ELi3EEviiPKT_S3_PS1_ii@rel32@hi+12
	v_mov_b32_e32 v0, 0x351
	v_mov_b32_e32 v1, s4
	;; [unrolled: 1-line block ×3, first 2 shown]
	s_getpc_b64 s[6:7]
	s_add_u32 s6, s6, __assert_fail@rel32@lo+4
	s_addc_u32 s7, s7, __assert_fail@rel32@hi+12
	s_swappc_b64 s[30:31], s[6:7]
	.section	.rodata,"a",@progbits
	.p2align	6, 0x0
	.amdhsa_kernel _Z12wvSplitK_hf_I14__hip_bfloat16Li64ELi7ELi16ELi8ELi1ELi3EEviiPKT_S3_PS1_ii
		.amdhsa_group_segment_fixed_size 0
		.amdhsa_private_segment_fixed_size 64
		.amdhsa_kernarg_size 296
		.amdhsa_user_sgpr_count 8
		.amdhsa_user_sgpr_private_segment_buffer 1
		.amdhsa_user_sgpr_dispatch_ptr 0
		.amdhsa_user_sgpr_queue_ptr 0
		.amdhsa_user_sgpr_kernarg_segment_ptr 1
		.amdhsa_user_sgpr_dispatch_id 0
		.amdhsa_user_sgpr_flat_scratch_init 1
		.amdhsa_user_sgpr_private_segment_size 0
		.amdhsa_wavefront_size32 1
		.amdhsa_uses_dynamic_stack 0
		.amdhsa_system_sgpr_private_segment_wavefront_offset 1
		.amdhsa_system_sgpr_workgroup_id_x 1
		.amdhsa_system_sgpr_workgroup_id_y 0
		.amdhsa_system_sgpr_workgroup_id_z 0
		.amdhsa_system_sgpr_workgroup_info 0
		.amdhsa_system_vgpr_workitem_id 0
		.amdhsa_next_free_vgpr 41
		.amdhsa_next_free_sgpr 34
		.amdhsa_reserve_vcc 1
		.amdhsa_reserve_flat_scratch 1
		.amdhsa_float_round_mode_32 0
		.amdhsa_float_round_mode_16_64 0
		.amdhsa_float_denorm_mode_32 3
		.amdhsa_float_denorm_mode_16_64 3
		.amdhsa_dx10_clamp 1
		.amdhsa_ieee_mode 1
		.amdhsa_fp16_overflow 0
		.amdhsa_workgroup_processor_mode 1
		.amdhsa_memory_ordered 1
		.amdhsa_forward_progress 1
		.amdhsa_shared_vgpr_count 0
		.amdhsa_exception_fp_ieee_invalid_op 0
		.amdhsa_exception_fp_denorm_src 0
		.amdhsa_exception_fp_ieee_div_zero 0
		.amdhsa_exception_fp_ieee_overflow 0
		.amdhsa_exception_fp_ieee_underflow 0
		.amdhsa_exception_fp_ieee_inexact 0
		.amdhsa_exception_int_div_zero 0
	.end_amdhsa_kernel
	.section	.text._Z12wvSplitK_hf_I14__hip_bfloat16Li64ELi7ELi16ELi8ELi1ELi3EEviiPKT_S3_PS1_ii,"axG",@progbits,_Z12wvSplitK_hf_I14__hip_bfloat16Li64ELi7ELi16ELi8ELi1ELi3EEviiPKT_S3_PS1_ii,comdat
.Lfunc_end29:
	.size	_Z12wvSplitK_hf_I14__hip_bfloat16Li64ELi7ELi16ELi8ELi1ELi3EEviiPKT_S3_PS1_ii, .Lfunc_end29-_Z12wvSplitK_hf_I14__hip_bfloat16Li64ELi7ELi16ELi8ELi1ELi3EEviiPKT_S3_PS1_ii
                                        ; -- End function
	.set _Z12wvSplitK_hf_I14__hip_bfloat16Li64ELi7ELi16ELi8ELi1ELi3EEviiPKT_S3_PS1_ii.num_vgpr, max(3, .L__assert_fail.num_vgpr)
	.set _Z12wvSplitK_hf_I14__hip_bfloat16Li64ELi7ELi16ELi8ELi1ELi3EEviiPKT_S3_PS1_ii.num_agpr, max(0, .L__assert_fail.num_agpr)
	.set _Z12wvSplitK_hf_I14__hip_bfloat16Li64ELi7ELi16ELi8ELi1ELi3EEviiPKT_S3_PS1_ii.numbered_sgpr, max(33, .L__assert_fail.numbered_sgpr)
	.set _Z12wvSplitK_hf_I14__hip_bfloat16Li64ELi7ELi16ELi8ELi1ELi3EEviiPKT_S3_PS1_ii.num_named_barrier, max(0, .L__assert_fail.num_named_barrier)
	.set _Z12wvSplitK_hf_I14__hip_bfloat16Li64ELi7ELi16ELi8ELi1ELi3EEviiPKT_S3_PS1_ii.private_seg_size, 0+max(.L__assert_fail.private_seg_size)
	.set _Z12wvSplitK_hf_I14__hip_bfloat16Li64ELi7ELi16ELi8ELi1ELi3EEviiPKT_S3_PS1_ii.uses_vcc, or(1, .L__assert_fail.uses_vcc)
	.set _Z12wvSplitK_hf_I14__hip_bfloat16Li64ELi7ELi16ELi8ELi1ELi3EEviiPKT_S3_PS1_ii.uses_flat_scratch, or(1, .L__assert_fail.uses_flat_scratch)
	.set _Z12wvSplitK_hf_I14__hip_bfloat16Li64ELi7ELi16ELi8ELi1ELi3EEviiPKT_S3_PS1_ii.has_dyn_sized_stack, or(0, .L__assert_fail.has_dyn_sized_stack)
	.set _Z12wvSplitK_hf_I14__hip_bfloat16Li64ELi7ELi16ELi8ELi1ELi3EEviiPKT_S3_PS1_ii.has_recursion, or(0, .L__assert_fail.has_recursion)
	.set _Z12wvSplitK_hf_I14__hip_bfloat16Li64ELi7ELi16ELi8ELi1ELi3EEviiPKT_S3_PS1_ii.has_indirect_call, or(0, .L__assert_fail.has_indirect_call)
	.section	.AMDGPU.csdata,"",@progbits
; Kernel info:
; codeLenInByte = 96
; TotalNumSgprs: 36
; NumVgprs: 41
; ScratchSize: 64
; MemoryBound: 0
; FloatMode: 240
; IeeeMode: 1
; LDSByteSize: 0 bytes/workgroup (compile time only)
; SGPRBlocks: 0
; VGPRBlocks: 5
; NumSGPRsForWavesPerEU: 36
; NumVGPRsForWavesPerEU: 41
; Occupancy: 16
; WaveLimiterHint : 1
; COMPUTE_PGM_RSRC2:SCRATCH_EN: 1
; COMPUTE_PGM_RSRC2:USER_SGPR: 8
; COMPUTE_PGM_RSRC2:TRAP_HANDLER: 0
; COMPUTE_PGM_RSRC2:TGID_X_EN: 1
; COMPUTE_PGM_RSRC2:TGID_Y_EN: 0
; COMPUTE_PGM_RSRC2:TGID_Z_EN: 0
; COMPUTE_PGM_RSRC2:TIDIG_COMP_CNT: 0
	.section	.text._Z16wvSplitK_hf_big_I14__hip_bfloat16Li64ELi7ELi16ELi8ELi1ELi3EEviiPKT_S3_PS1_ii,"axG",@progbits,_Z16wvSplitK_hf_big_I14__hip_bfloat16Li64ELi7ELi16ELi8ELi1ELi3EEviiPKT_S3_PS1_ii,comdat
	.protected	_Z16wvSplitK_hf_big_I14__hip_bfloat16Li64ELi7ELi16ELi8ELi1ELi3EEviiPKT_S3_PS1_ii ; -- Begin function _Z16wvSplitK_hf_big_I14__hip_bfloat16Li64ELi7ELi16ELi8ELi1ELi3EEviiPKT_S3_PS1_ii
	.globl	_Z16wvSplitK_hf_big_I14__hip_bfloat16Li64ELi7ELi16ELi8ELi1ELi3EEviiPKT_S3_PS1_ii
	.p2align	8
	.type	_Z16wvSplitK_hf_big_I14__hip_bfloat16Li64ELi7ELi16ELi8ELi1ELi3EEviiPKT_S3_PS1_ii,@function
_Z16wvSplitK_hf_big_I14__hip_bfloat16Li64ELi7ELi16ELi8ELi1ELi3EEviiPKT_S3_PS1_ii: ; @_Z16wvSplitK_hf_big_I14__hip_bfloat16Li64ELi7ELi16ELi8ELi1ELi3EEviiPKT_S3_PS1_ii
; %bb.0:
	s_add_u32 s6, s6, s9
	s_mov_b32 s32, 0
	s_addc_u32 s7, s7, 0
	s_setreg_b32 hwreg(HW_REG_FLAT_SCR_LO), s6
	s_setreg_b32 hwreg(HW_REG_FLAT_SCR_HI), s7
	s_add_u32 s0, s0, s9
	s_addc_u32 s1, s1, 0
	s_add_u32 s8, s4, 40
	s_addc_u32 s9, s5, 0
	s_getpc_b64 s[4:5]
	s_add_u32 s4, s4, __PRETTY_FUNCTION__._Z16wvSplitK_hf_big_I14__hip_bfloat16Li64ELi7ELi16ELi8ELi1ELi3EEviiPKT_S3_PS1_ii@rel32@lo+4
	s_addc_u32 s5, s5, __PRETTY_FUNCTION__._Z16wvSplitK_hf_big_I14__hip_bfloat16Li64ELi7ELi16ELi8ELi1ELi3EEviiPKT_S3_PS1_ii@rel32@hi+12
	v_mov_b32_e32 v0, 0x4ad
	v_mov_b32_e32 v1, s4
	;; [unrolled: 1-line block ×3, first 2 shown]
	s_getpc_b64 s[6:7]
	s_add_u32 s6, s6, __assert_fail@rel32@lo+4
	s_addc_u32 s7, s7, __assert_fail@rel32@hi+12
	s_swappc_b64 s[30:31], s[6:7]
	.section	.rodata,"a",@progbits
	.p2align	6, 0x0
	.amdhsa_kernel _Z16wvSplitK_hf_big_I14__hip_bfloat16Li64ELi7ELi16ELi8ELi1ELi3EEviiPKT_S3_PS1_ii
		.amdhsa_group_segment_fixed_size 0
		.amdhsa_private_segment_fixed_size 64
		.amdhsa_kernarg_size 296
		.amdhsa_user_sgpr_count 8
		.amdhsa_user_sgpr_private_segment_buffer 1
		.amdhsa_user_sgpr_dispatch_ptr 0
		.amdhsa_user_sgpr_queue_ptr 0
		.amdhsa_user_sgpr_kernarg_segment_ptr 1
		.amdhsa_user_sgpr_dispatch_id 0
		.amdhsa_user_sgpr_flat_scratch_init 1
		.amdhsa_user_sgpr_private_segment_size 0
		.amdhsa_wavefront_size32 1
		.amdhsa_uses_dynamic_stack 0
		.amdhsa_system_sgpr_private_segment_wavefront_offset 1
		.amdhsa_system_sgpr_workgroup_id_x 1
		.amdhsa_system_sgpr_workgroup_id_y 0
		.amdhsa_system_sgpr_workgroup_id_z 0
		.amdhsa_system_sgpr_workgroup_info 0
		.amdhsa_system_vgpr_workitem_id 0
		.amdhsa_next_free_vgpr 41
		.amdhsa_next_free_sgpr 34
		.amdhsa_reserve_vcc 1
		.amdhsa_reserve_flat_scratch 1
		.amdhsa_float_round_mode_32 0
		.amdhsa_float_round_mode_16_64 0
		.amdhsa_float_denorm_mode_32 3
		.amdhsa_float_denorm_mode_16_64 3
		.amdhsa_dx10_clamp 1
		.amdhsa_ieee_mode 1
		.amdhsa_fp16_overflow 0
		.amdhsa_workgroup_processor_mode 1
		.amdhsa_memory_ordered 1
		.amdhsa_forward_progress 1
		.amdhsa_shared_vgpr_count 0
		.amdhsa_exception_fp_ieee_invalid_op 0
		.amdhsa_exception_fp_denorm_src 0
		.amdhsa_exception_fp_ieee_div_zero 0
		.amdhsa_exception_fp_ieee_overflow 0
		.amdhsa_exception_fp_ieee_underflow 0
		.amdhsa_exception_fp_ieee_inexact 0
		.amdhsa_exception_int_div_zero 0
	.end_amdhsa_kernel
	.section	.text._Z16wvSplitK_hf_big_I14__hip_bfloat16Li64ELi7ELi16ELi8ELi1ELi3EEviiPKT_S3_PS1_ii,"axG",@progbits,_Z16wvSplitK_hf_big_I14__hip_bfloat16Li64ELi7ELi16ELi8ELi1ELi3EEviiPKT_S3_PS1_ii,comdat
.Lfunc_end30:
	.size	_Z16wvSplitK_hf_big_I14__hip_bfloat16Li64ELi7ELi16ELi8ELi1ELi3EEviiPKT_S3_PS1_ii, .Lfunc_end30-_Z16wvSplitK_hf_big_I14__hip_bfloat16Li64ELi7ELi16ELi8ELi1ELi3EEviiPKT_S3_PS1_ii
                                        ; -- End function
	.set _Z16wvSplitK_hf_big_I14__hip_bfloat16Li64ELi7ELi16ELi8ELi1ELi3EEviiPKT_S3_PS1_ii.num_vgpr, max(3, .L__assert_fail.num_vgpr)
	.set _Z16wvSplitK_hf_big_I14__hip_bfloat16Li64ELi7ELi16ELi8ELi1ELi3EEviiPKT_S3_PS1_ii.num_agpr, max(0, .L__assert_fail.num_agpr)
	.set _Z16wvSplitK_hf_big_I14__hip_bfloat16Li64ELi7ELi16ELi8ELi1ELi3EEviiPKT_S3_PS1_ii.numbered_sgpr, max(33, .L__assert_fail.numbered_sgpr)
	.set _Z16wvSplitK_hf_big_I14__hip_bfloat16Li64ELi7ELi16ELi8ELi1ELi3EEviiPKT_S3_PS1_ii.num_named_barrier, max(0, .L__assert_fail.num_named_barrier)
	.set _Z16wvSplitK_hf_big_I14__hip_bfloat16Li64ELi7ELi16ELi8ELi1ELi3EEviiPKT_S3_PS1_ii.private_seg_size, 0+max(.L__assert_fail.private_seg_size)
	.set _Z16wvSplitK_hf_big_I14__hip_bfloat16Li64ELi7ELi16ELi8ELi1ELi3EEviiPKT_S3_PS1_ii.uses_vcc, or(1, .L__assert_fail.uses_vcc)
	.set _Z16wvSplitK_hf_big_I14__hip_bfloat16Li64ELi7ELi16ELi8ELi1ELi3EEviiPKT_S3_PS1_ii.uses_flat_scratch, or(1, .L__assert_fail.uses_flat_scratch)
	.set _Z16wvSplitK_hf_big_I14__hip_bfloat16Li64ELi7ELi16ELi8ELi1ELi3EEviiPKT_S3_PS1_ii.has_dyn_sized_stack, or(0, .L__assert_fail.has_dyn_sized_stack)
	.set _Z16wvSplitK_hf_big_I14__hip_bfloat16Li64ELi7ELi16ELi8ELi1ELi3EEviiPKT_S3_PS1_ii.has_recursion, or(0, .L__assert_fail.has_recursion)
	.set _Z16wvSplitK_hf_big_I14__hip_bfloat16Li64ELi7ELi16ELi8ELi1ELi3EEviiPKT_S3_PS1_ii.has_indirect_call, or(0, .L__assert_fail.has_indirect_call)
	.section	.AMDGPU.csdata,"",@progbits
; Kernel info:
; codeLenInByte = 96
; TotalNumSgprs: 36
; NumVgprs: 41
; ScratchSize: 64
; MemoryBound: 0
; FloatMode: 240
; IeeeMode: 1
; LDSByteSize: 0 bytes/workgroup (compile time only)
; SGPRBlocks: 0
; VGPRBlocks: 5
; NumSGPRsForWavesPerEU: 36
; NumVGPRsForWavesPerEU: 41
; Occupancy: 16
; WaveLimiterHint : 1
; COMPUTE_PGM_RSRC2:SCRATCH_EN: 1
; COMPUTE_PGM_RSRC2:USER_SGPR: 8
; COMPUTE_PGM_RSRC2:TRAP_HANDLER: 0
; COMPUTE_PGM_RSRC2:TGID_X_EN: 1
; COMPUTE_PGM_RSRC2:TGID_Y_EN: 0
; COMPUTE_PGM_RSRC2:TGID_Z_EN: 0
; COMPUTE_PGM_RSRC2:TIDIG_COMP_CNT: 0
	.section	.text._Z16wvSplitK_hf_sml_I14__hip_bfloat16Li64ELi4ELi16ELi8ELi1ELi4EEviiPKT_S3_PS1_ii,"axG",@progbits,_Z16wvSplitK_hf_sml_I14__hip_bfloat16Li64ELi4ELi16ELi8ELi1ELi4EEviiPKT_S3_PS1_ii,comdat
	.protected	_Z16wvSplitK_hf_sml_I14__hip_bfloat16Li64ELi4ELi16ELi8ELi1ELi4EEviiPKT_S3_PS1_ii ; -- Begin function _Z16wvSplitK_hf_sml_I14__hip_bfloat16Li64ELi4ELi16ELi8ELi1ELi4EEviiPKT_S3_PS1_ii
	.globl	_Z16wvSplitK_hf_sml_I14__hip_bfloat16Li64ELi4ELi16ELi8ELi1ELi4EEviiPKT_S3_PS1_ii
	.p2align	8
	.type	_Z16wvSplitK_hf_sml_I14__hip_bfloat16Li64ELi4ELi16ELi8ELi1ELi4EEviiPKT_S3_PS1_ii,@function
_Z16wvSplitK_hf_sml_I14__hip_bfloat16Li64ELi4ELi16ELi8ELi1ELi4EEviiPKT_S3_PS1_ii: ; @_Z16wvSplitK_hf_sml_I14__hip_bfloat16Li64ELi4ELi16ELi8ELi1ELi4EEviiPKT_S3_PS1_ii
; %bb.0:
	s_add_u32 s6, s6, s9
	s_mov_b32 s32, 0
	s_addc_u32 s7, s7, 0
	s_setreg_b32 hwreg(HW_REG_FLAT_SCR_LO), s6
	s_setreg_b32 hwreg(HW_REG_FLAT_SCR_HI), s7
	s_add_u32 s0, s0, s9
	s_addc_u32 s1, s1, 0
	s_add_u32 s8, s4, 40
	s_addc_u32 s9, s5, 0
	s_getpc_b64 s[4:5]
	s_add_u32 s4, s4, __PRETTY_FUNCTION__._Z16wvSplitK_hf_sml_I14__hip_bfloat16Li64ELi4ELi16ELi8ELi1ELi4EEviiPKT_S3_PS1_ii@rel32@lo+4
	s_addc_u32 s5, s5, __PRETTY_FUNCTION__._Z16wvSplitK_hf_sml_I14__hip_bfloat16Li64ELi4ELi16ELi8ELi1ELi4EEviiPKT_S3_PS1_ii@rel32@hi+12
	v_mov_b32_e32 v0, 0x224
	v_mov_b32_e32 v1, s4
	;; [unrolled: 1-line block ×3, first 2 shown]
	s_getpc_b64 s[6:7]
	s_add_u32 s6, s6, __assert_fail@rel32@lo+4
	s_addc_u32 s7, s7, __assert_fail@rel32@hi+12
	s_swappc_b64 s[30:31], s[6:7]
	.section	.rodata,"a",@progbits
	.p2align	6, 0x0
	.amdhsa_kernel _Z16wvSplitK_hf_sml_I14__hip_bfloat16Li64ELi4ELi16ELi8ELi1ELi4EEviiPKT_S3_PS1_ii
		.amdhsa_group_segment_fixed_size 0
		.amdhsa_private_segment_fixed_size 64
		.amdhsa_kernarg_size 296
		.amdhsa_user_sgpr_count 8
		.amdhsa_user_sgpr_private_segment_buffer 1
		.amdhsa_user_sgpr_dispatch_ptr 0
		.amdhsa_user_sgpr_queue_ptr 0
		.amdhsa_user_sgpr_kernarg_segment_ptr 1
		.amdhsa_user_sgpr_dispatch_id 0
		.amdhsa_user_sgpr_flat_scratch_init 1
		.amdhsa_user_sgpr_private_segment_size 0
		.amdhsa_wavefront_size32 1
		.amdhsa_uses_dynamic_stack 0
		.amdhsa_system_sgpr_private_segment_wavefront_offset 1
		.amdhsa_system_sgpr_workgroup_id_x 1
		.amdhsa_system_sgpr_workgroup_id_y 0
		.amdhsa_system_sgpr_workgroup_id_z 0
		.amdhsa_system_sgpr_workgroup_info 0
		.amdhsa_system_vgpr_workitem_id 0
		.amdhsa_next_free_vgpr 41
		.amdhsa_next_free_sgpr 34
		.amdhsa_reserve_vcc 1
		.amdhsa_reserve_flat_scratch 1
		.amdhsa_float_round_mode_32 0
		.amdhsa_float_round_mode_16_64 0
		.amdhsa_float_denorm_mode_32 3
		.amdhsa_float_denorm_mode_16_64 3
		.amdhsa_dx10_clamp 1
		.amdhsa_ieee_mode 1
		.amdhsa_fp16_overflow 0
		.amdhsa_workgroup_processor_mode 1
		.amdhsa_memory_ordered 1
		.amdhsa_forward_progress 1
		.amdhsa_shared_vgpr_count 0
		.amdhsa_exception_fp_ieee_invalid_op 0
		.amdhsa_exception_fp_denorm_src 0
		.amdhsa_exception_fp_ieee_div_zero 0
		.amdhsa_exception_fp_ieee_overflow 0
		.amdhsa_exception_fp_ieee_underflow 0
		.amdhsa_exception_fp_ieee_inexact 0
		.amdhsa_exception_int_div_zero 0
	.end_amdhsa_kernel
	.section	.text._Z16wvSplitK_hf_sml_I14__hip_bfloat16Li64ELi4ELi16ELi8ELi1ELi4EEviiPKT_S3_PS1_ii,"axG",@progbits,_Z16wvSplitK_hf_sml_I14__hip_bfloat16Li64ELi4ELi16ELi8ELi1ELi4EEviiPKT_S3_PS1_ii,comdat
.Lfunc_end31:
	.size	_Z16wvSplitK_hf_sml_I14__hip_bfloat16Li64ELi4ELi16ELi8ELi1ELi4EEviiPKT_S3_PS1_ii, .Lfunc_end31-_Z16wvSplitK_hf_sml_I14__hip_bfloat16Li64ELi4ELi16ELi8ELi1ELi4EEviiPKT_S3_PS1_ii
                                        ; -- End function
	.set _Z16wvSplitK_hf_sml_I14__hip_bfloat16Li64ELi4ELi16ELi8ELi1ELi4EEviiPKT_S3_PS1_ii.num_vgpr, max(3, .L__assert_fail.num_vgpr)
	.set _Z16wvSplitK_hf_sml_I14__hip_bfloat16Li64ELi4ELi16ELi8ELi1ELi4EEviiPKT_S3_PS1_ii.num_agpr, max(0, .L__assert_fail.num_agpr)
	.set _Z16wvSplitK_hf_sml_I14__hip_bfloat16Li64ELi4ELi16ELi8ELi1ELi4EEviiPKT_S3_PS1_ii.numbered_sgpr, max(33, .L__assert_fail.numbered_sgpr)
	.set _Z16wvSplitK_hf_sml_I14__hip_bfloat16Li64ELi4ELi16ELi8ELi1ELi4EEviiPKT_S3_PS1_ii.num_named_barrier, max(0, .L__assert_fail.num_named_barrier)
	.set _Z16wvSplitK_hf_sml_I14__hip_bfloat16Li64ELi4ELi16ELi8ELi1ELi4EEviiPKT_S3_PS1_ii.private_seg_size, 0+max(.L__assert_fail.private_seg_size)
	.set _Z16wvSplitK_hf_sml_I14__hip_bfloat16Li64ELi4ELi16ELi8ELi1ELi4EEviiPKT_S3_PS1_ii.uses_vcc, or(1, .L__assert_fail.uses_vcc)
	.set _Z16wvSplitK_hf_sml_I14__hip_bfloat16Li64ELi4ELi16ELi8ELi1ELi4EEviiPKT_S3_PS1_ii.uses_flat_scratch, or(1, .L__assert_fail.uses_flat_scratch)
	.set _Z16wvSplitK_hf_sml_I14__hip_bfloat16Li64ELi4ELi16ELi8ELi1ELi4EEviiPKT_S3_PS1_ii.has_dyn_sized_stack, or(0, .L__assert_fail.has_dyn_sized_stack)
	.set _Z16wvSplitK_hf_sml_I14__hip_bfloat16Li64ELi4ELi16ELi8ELi1ELi4EEviiPKT_S3_PS1_ii.has_recursion, or(0, .L__assert_fail.has_recursion)
	.set _Z16wvSplitK_hf_sml_I14__hip_bfloat16Li64ELi4ELi16ELi8ELi1ELi4EEviiPKT_S3_PS1_ii.has_indirect_call, or(0, .L__assert_fail.has_indirect_call)
	.section	.AMDGPU.csdata,"",@progbits
; Kernel info:
; codeLenInByte = 96
; TotalNumSgprs: 36
; NumVgprs: 41
; ScratchSize: 64
; MemoryBound: 0
; FloatMode: 240
; IeeeMode: 1
; LDSByteSize: 0 bytes/workgroup (compile time only)
; SGPRBlocks: 0
; VGPRBlocks: 5
; NumSGPRsForWavesPerEU: 36
; NumVGPRsForWavesPerEU: 41
; Occupancy: 16
; WaveLimiterHint : 1
; COMPUTE_PGM_RSRC2:SCRATCH_EN: 1
; COMPUTE_PGM_RSRC2:USER_SGPR: 8
; COMPUTE_PGM_RSRC2:TRAP_HANDLER: 0
; COMPUTE_PGM_RSRC2:TGID_X_EN: 1
; COMPUTE_PGM_RSRC2:TGID_Y_EN: 0
; COMPUTE_PGM_RSRC2:TGID_Z_EN: 0
; COMPUTE_PGM_RSRC2:TIDIG_COMP_CNT: 0
	.section	.text._Z12wvSplitK_hf_I14__hip_bfloat16Li64ELi7ELi16ELi8ELi1ELi4EEviiPKT_S3_PS1_ii,"axG",@progbits,_Z12wvSplitK_hf_I14__hip_bfloat16Li64ELi7ELi16ELi8ELi1ELi4EEviiPKT_S3_PS1_ii,comdat
	.protected	_Z12wvSplitK_hf_I14__hip_bfloat16Li64ELi7ELi16ELi8ELi1ELi4EEviiPKT_S3_PS1_ii ; -- Begin function _Z12wvSplitK_hf_I14__hip_bfloat16Li64ELi7ELi16ELi8ELi1ELi4EEviiPKT_S3_PS1_ii
	.globl	_Z12wvSplitK_hf_I14__hip_bfloat16Li64ELi7ELi16ELi8ELi1ELi4EEviiPKT_S3_PS1_ii
	.p2align	8
	.type	_Z12wvSplitK_hf_I14__hip_bfloat16Li64ELi7ELi16ELi8ELi1ELi4EEviiPKT_S3_PS1_ii,@function
_Z12wvSplitK_hf_I14__hip_bfloat16Li64ELi7ELi16ELi8ELi1ELi4EEviiPKT_S3_PS1_ii: ; @_Z12wvSplitK_hf_I14__hip_bfloat16Li64ELi7ELi16ELi8ELi1ELi4EEviiPKT_S3_PS1_ii
; %bb.0:
	s_add_u32 s6, s6, s9
	s_mov_b32 s32, 0
	s_addc_u32 s7, s7, 0
	s_setreg_b32 hwreg(HW_REG_FLAT_SCR_LO), s6
	s_setreg_b32 hwreg(HW_REG_FLAT_SCR_HI), s7
	s_add_u32 s0, s0, s9
	s_addc_u32 s1, s1, 0
	s_add_u32 s8, s4, 40
	s_addc_u32 s9, s5, 0
	s_getpc_b64 s[4:5]
	s_add_u32 s4, s4, __PRETTY_FUNCTION__._Z12wvSplitK_hf_I14__hip_bfloat16Li64ELi7ELi16ELi8ELi1ELi4EEviiPKT_S3_PS1_ii@rel32@lo+4
	s_addc_u32 s5, s5, __PRETTY_FUNCTION__._Z12wvSplitK_hf_I14__hip_bfloat16Li64ELi7ELi16ELi8ELi1ELi4EEviiPKT_S3_PS1_ii@rel32@hi+12
	v_mov_b32_e32 v0, 0x351
	v_mov_b32_e32 v1, s4
	;; [unrolled: 1-line block ×3, first 2 shown]
	s_getpc_b64 s[6:7]
	s_add_u32 s6, s6, __assert_fail@rel32@lo+4
	s_addc_u32 s7, s7, __assert_fail@rel32@hi+12
	s_swappc_b64 s[30:31], s[6:7]
	.section	.rodata,"a",@progbits
	.p2align	6, 0x0
	.amdhsa_kernel _Z12wvSplitK_hf_I14__hip_bfloat16Li64ELi7ELi16ELi8ELi1ELi4EEviiPKT_S3_PS1_ii
		.amdhsa_group_segment_fixed_size 0
		.amdhsa_private_segment_fixed_size 64
		.amdhsa_kernarg_size 296
		.amdhsa_user_sgpr_count 8
		.amdhsa_user_sgpr_private_segment_buffer 1
		.amdhsa_user_sgpr_dispatch_ptr 0
		.amdhsa_user_sgpr_queue_ptr 0
		.amdhsa_user_sgpr_kernarg_segment_ptr 1
		.amdhsa_user_sgpr_dispatch_id 0
		.amdhsa_user_sgpr_flat_scratch_init 1
		.amdhsa_user_sgpr_private_segment_size 0
		.amdhsa_wavefront_size32 1
		.amdhsa_uses_dynamic_stack 0
		.amdhsa_system_sgpr_private_segment_wavefront_offset 1
		.amdhsa_system_sgpr_workgroup_id_x 1
		.amdhsa_system_sgpr_workgroup_id_y 0
		.amdhsa_system_sgpr_workgroup_id_z 0
		.amdhsa_system_sgpr_workgroup_info 0
		.amdhsa_system_vgpr_workitem_id 0
		.amdhsa_next_free_vgpr 41
		.amdhsa_next_free_sgpr 34
		.amdhsa_reserve_vcc 1
		.amdhsa_reserve_flat_scratch 1
		.amdhsa_float_round_mode_32 0
		.amdhsa_float_round_mode_16_64 0
		.amdhsa_float_denorm_mode_32 3
		.amdhsa_float_denorm_mode_16_64 3
		.amdhsa_dx10_clamp 1
		.amdhsa_ieee_mode 1
		.amdhsa_fp16_overflow 0
		.amdhsa_workgroup_processor_mode 1
		.amdhsa_memory_ordered 1
		.amdhsa_forward_progress 1
		.amdhsa_shared_vgpr_count 0
		.amdhsa_exception_fp_ieee_invalid_op 0
		.amdhsa_exception_fp_denorm_src 0
		.amdhsa_exception_fp_ieee_div_zero 0
		.amdhsa_exception_fp_ieee_overflow 0
		.amdhsa_exception_fp_ieee_underflow 0
		.amdhsa_exception_fp_ieee_inexact 0
		.amdhsa_exception_int_div_zero 0
	.end_amdhsa_kernel
	.section	.text._Z12wvSplitK_hf_I14__hip_bfloat16Li64ELi7ELi16ELi8ELi1ELi4EEviiPKT_S3_PS1_ii,"axG",@progbits,_Z12wvSplitK_hf_I14__hip_bfloat16Li64ELi7ELi16ELi8ELi1ELi4EEviiPKT_S3_PS1_ii,comdat
.Lfunc_end32:
	.size	_Z12wvSplitK_hf_I14__hip_bfloat16Li64ELi7ELi16ELi8ELi1ELi4EEviiPKT_S3_PS1_ii, .Lfunc_end32-_Z12wvSplitK_hf_I14__hip_bfloat16Li64ELi7ELi16ELi8ELi1ELi4EEviiPKT_S3_PS1_ii
                                        ; -- End function
	.set _Z12wvSplitK_hf_I14__hip_bfloat16Li64ELi7ELi16ELi8ELi1ELi4EEviiPKT_S3_PS1_ii.num_vgpr, max(3, .L__assert_fail.num_vgpr)
	.set _Z12wvSplitK_hf_I14__hip_bfloat16Li64ELi7ELi16ELi8ELi1ELi4EEviiPKT_S3_PS1_ii.num_agpr, max(0, .L__assert_fail.num_agpr)
	.set _Z12wvSplitK_hf_I14__hip_bfloat16Li64ELi7ELi16ELi8ELi1ELi4EEviiPKT_S3_PS1_ii.numbered_sgpr, max(33, .L__assert_fail.numbered_sgpr)
	.set _Z12wvSplitK_hf_I14__hip_bfloat16Li64ELi7ELi16ELi8ELi1ELi4EEviiPKT_S3_PS1_ii.num_named_barrier, max(0, .L__assert_fail.num_named_barrier)
	.set _Z12wvSplitK_hf_I14__hip_bfloat16Li64ELi7ELi16ELi8ELi1ELi4EEviiPKT_S3_PS1_ii.private_seg_size, 0+max(.L__assert_fail.private_seg_size)
	.set _Z12wvSplitK_hf_I14__hip_bfloat16Li64ELi7ELi16ELi8ELi1ELi4EEviiPKT_S3_PS1_ii.uses_vcc, or(1, .L__assert_fail.uses_vcc)
	.set _Z12wvSplitK_hf_I14__hip_bfloat16Li64ELi7ELi16ELi8ELi1ELi4EEviiPKT_S3_PS1_ii.uses_flat_scratch, or(1, .L__assert_fail.uses_flat_scratch)
	.set _Z12wvSplitK_hf_I14__hip_bfloat16Li64ELi7ELi16ELi8ELi1ELi4EEviiPKT_S3_PS1_ii.has_dyn_sized_stack, or(0, .L__assert_fail.has_dyn_sized_stack)
	.set _Z12wvSplitK_hf_I14__hip_bfloat16Li64ELi7ELi16ELi8ELi1ELi4EEviiPKT_S3_PS1_ii.has_recursion, or(0, .L__assert_fail.has_recursion)
	.set _Z12wvSplitK_hf_I14__hip_bfloat16Li64ELi7ELi16ELi8ELi1ELi4EEviiPKT_S3_PS1_ii.has_indirect_call, or(0, .L__assert_fail.has_indirect_call)
	.section	.AMDGPU.csdata,"",@progbits
; Kernel info:
; codeLenInByte = 96
; TotalNumSgprs: 36
; NumVgprs: 41
; ScratchSize: 64
; MemoryBound: 0
; FloatMode: 240
; IeeeMode: 1
; LDSByteSize: 0 bytes/workgroup (compile time only)
; SGPRBlocks: 0
; VGPRBlocks: 5
; NumSGPRsForWavesPerEU: 36
; NumVGPRsForWavesPerEU: 41
; Occupancy: 16
; WaveLimiterHint : 1
; COMPUTE_PGM_RSRC2:SCRATCH_EN: 1
; COMPUTE_PGM_RSRC2:USER_SGPR: 8
; COMPUTE_PGM_RSRC2:TRAP_HANDLER: 0
; COMPUTE_PGM_RSRC2:TGID_X_EN: 1
; COMPUTE_PGM_RSRC2:TGID_Y_EN: 0
; COMPUTE_PGM_RSRC2:TGID_Z_EN: 0
; COMPUTE_PGM_RSRC2:TIDIG_COMP_CNT: 0
	.section	.text._Z16wvSplitK_hf_big_I14__hip_bfloat16Li64ELi7ELi16ELi8ELi1ELi4EEviiPKT_S3_PS1_ii,"axG",@progbits,_Z16wvSplitK_hf_big_I14__hip_bfloat16Li64ELi7ELi16ELi8ELi1ELi4EEviiPKT_S3_PS1_ii,comdat
	.protected	_Z16wvSplitK_hf_big_I14__hip_bfloat16Li64ELi7ELi16ELi8ELi1ELi4EEviiPKT_S3_PS1_ii ; -- Begin function _Z16wvSplitK_hf_big_I14__hip_bfloat16Li64ELi7ELi16ELi8ELi1ELi4EEviiPKT_S3_PS1_ii
	.globl	_Z16wvSplitK_hf_big_I14__hip_bfloat16Li64ELi7ELi16ELi8ELi1ELi4EEviiPKT_S3_PS1_ii
	.p2align	8
	.type	_Z16wvSplitK_hf_big_I14__hip_bfloat16Li64ELi7ELi16ELi8ELi1ELi4EEviiPKT_S3_PS1_ii,@function
_Z16wvSplitK_hf_big_I14__hip_bfloat16Li64ELi7ELi16ELi8ELi1ELi4EEviiPKT_S3_PS1_ii: ; @_Z16wvSplitK_hf_big_I14__hip_bfloat16Li64ELi7ELi16ELi8ELi1ELi4EEviiPKT_S3_PS1_ii
; %bb.0:
	s_add_u32 s6, s6, s9
	s_mov_b32 s32, 0
	s_addc_u32 s7, s7, 0
	s_setreg_b32 hwreg(HW_REG_FLAT_SCR_LO), s6
	s_setreg_b32 hwreg(HW_REG_FLAT_SCR_HI), s7
	s_add_u32 s0, s0, s9
	s_addc_u32 s1, s1, 0
	s_add_u32 s8, s4, 40
	s_addc_u32 s9, s5, 0
	s_getpc_b64 s[4:5]
	s_add_u32 s4, s4, __PRETTY_FUNCTION__._Z16wvSplitK_hf_big_I14__hip_bfloat16Li64ELi7ELi16ELi8ELi1ELi4EEviiPKT_S3_PS1_ii@rel32@lo+4
	s_addc_u32 s5, s5, __PRETTY_FUNCTION__._Z16wvSplitK_hf_big_I14__hip_bfloat16Li64ELi7ELi16ELi8ELi1ELi4EEviiPKT_S3_PS1_ii@rel32@hi+12
	v_mov_b32_e32 v0, 0x4ad
	v_mov_b32_e32 v1, s4
	;; [unrolled: 1-line block ×3, first 2 shown]
	s_getpc_b64 s[6:7]
	s_add_u32 s6, s6, __assert_fail@rel32@lo+4
	s_addc_u32 s7, s7, __assert_fail@rel32@hi+12
	s_swappc_b64 s[30:31], s[6:7]
	.section	.rodata,"a",@progbits
	.p2align	6, 0x0
	.amdhsa_kernel _Z16wvSplitK_hf_big_I14__hip_bfloat16Li64ELi7ELi16ELi8ELi1ELi4EEviiPKT_S3_PS1_ii
		.amdhsa_group_segment_fixed_size 0
		.amdhsa_private_segment_fixed_size 64
		.amdhsa_kernarg_size 296
		.amdhsa_user_sgpr_count 8
		.amdhsa_user_sgpr_private_segment_buffer 1
		.amdhsa_user_sgpr_dispatch_ptr 0
		.amdhsa_user_sgpr_queue_ptr 0
		.amdhsa_user_sgpr_kernarg_segment_ptr 1
		.amdhsa_user_sgpr_dispatch_id 0
		.amdhsa_user_sgpr_flat_scratch_init 1
		.amdhsa_user_sgpr_private_segment_size 0
		.amdhsa_wavefront_size32 1
		.amdhsa_uses_dynamic_stack 0
		.amdhsa_system_sgpr_private_segment_wavefront_offset 1
		.amdhsa_system_sgpr_workgroup_id_x 1
		.amdhsa_system_sgpr_workgroup_id_y 0
		.amdhsa_system_sgpr_workgroup_id_z 0
		.amdhsa_system_sgpr_workgroup_info 0
		.amdhsa_system_vgpr_workitem_id 0
		.amdhsa_next_free_vgpr 41
		.amdhsa_next_free_sgpr 34
		.amdhsa_reserve_vcc 1
		.amdhsa_reserve_flat_scratch 1
		.amdhsa_float_round_mode_32 0
		.amdhsa_float_round_mode_16_64 0
		.amdhsa_float_denorm_mode_32 3
		.amdhsa_float_denorm_mode_16_64 3
		.amdhsa_dx10_clamp 1
		.amdhsa_ieee_mode 1
		.amdhsa_fp16_overflow 0
		.amdhsa_workgroup_processor_mode 1
		.amdhsa_memory_ordered 1
		.amdhsa_forward_progress 1
		.amdhsa_shared_vgpr_count 0
		.amdhsa_exception_fp_ieee_invalid_op 0
		.amdhsa_exception_fp_denorm_src 0
		.amdhsa_exception_fp_ieee_div_zero 0
		.amdhsa_exception_fp_ieee_overflow 0
		.amdhsa_exception_fp_ieee_underflow 0
		.amdhsa_exception_fp_ieee_inexact 0
		.amdhsa_exception_int_div_zero 0
	.end_amdhsa_kernel
	.section	.text._Z16wvSplitK_hf_big_I14__hip_bfloat16Li64ELi7ELi16ELi8ELi1ELi4EEviiPKT_S3_PS1_ii,"axG",@progbits,_Z16wvSplitK_hf_big_I14__hip_bfloat16Li64ELi7ELi16ELi8ELi1ELi4EEviiPKT_S3_PS1_ii,comdat
.Lfunc_end33:
	.size	_Z16wvSplitK_hf_big_I14__hip_bfloat16Li64ELi7ELi16ELi8ELi1ELi4EEviiPKT_S3_PS1_ii, .Lfunc_end33-_Z16wvSplitK_hf_big_I14__hip_bfloat16Li64ELi7ELi16ELi8ELi1ELi4EEviiPKT_S3_PS1_ii
                                        ; -- End function
	.set _Z16wvSplitK_hf_big_I14__hip_bfloat16Li64ELi7ELi16ELi8ELi1ELi4EEviiPKT_S3_PS1_ii.num_vgpr, max(3, .L__assert_fail.num_vgpr)
	.set _Z16wvSplitK_hf_big_I14__hip_bfloat16Li64ELi7ELi16ELi8ELi1ELi4EEviiPKT_S3_PS1_ii.num_agpr, max(0, .L__assert_fail.num_agpr)
	.set _Z16wvSplitK_hf_big_I14__hip_bfloat16Li64ELi7ELi16ELi8ELi1ELi4EEviiPKT_S3_PS1_ii.numbered_sgpr, max(33, .L__assert_fail.numbered_sgpr)
	.set _Z16wvSplitK_hf_big_I14__hip_bfloat16Li64ELi7ELi16ELi8ELi1ELi4EEviiPKT_S3_PS1_ii.num_named_barrier, max(0, .L__assert_fail.num_named_barrier)
	.set _Z16wvSplitK_hf_big_I14__hip_bfloat16Li64ELi7ELi16ELi8ELi1ELi4EEviiPKT_S3_PS1_ii.private_seg_size, 0+max(.L__assert_fail.private_seg_size)
	.set _Z16wvSplitK_hf_big_I14__hip_bfloat16Li64ELi7ELi16ELi8ELi1ELi4EEviiPKT_S3_PS1_ii.uses_vcc, or(1, .L__assert_fail.uses_vcc)
	.set _Z16wvSplitK_hf_big_I14__hip_bfloat16Li64ELi7ELi16ELi8ELi1ELi4EEviiPKT_S3_PS1_ii.uses_flat_scratch, or(1, .L__assert_fail.uses_flat_scratch)
	.set _Z16wvSplitK_hf_big_I14__hip_bfloat16Li64ELi7ELi16ELi8ELi1ELi4EEviiPKT_S3_PS1_ii.has_dyn_sized_stack, or(0, .L__assert_fail.has_dyn_sized_stack)
	.set _Z16wvSplitK_hf_big_I14__hip_bfloat16Li64ELi7ELi16ELi8ELi1ELi4EEviiPKT_S3_PS1_ii.has_recursion, or(0, .L__assert_fail.has_recursion)
	.set _Z16wvSplitK_hf_big_I14__hip_bfloat16Li64ELi7ELi16ELi8ELi1ELi4EEviiPKT_S3_PS1_ii.has_indirect_call, or(0, .L__assert_fail.has_indirect_call)
	.section	.AMDGPU.csdata,"",@progbits
; Kernel info:
; codeLenInByte = 96
; TotalNumSgprs: 36
; NumVgprs: 41
; ScratchSize: 64
; MemoryBound: 0
; FloatMode: 240
; IeeeMode: 1
; LDSByteSize: 0 bytes/workgroup (compile time only)
; SGPRBlocks: 0
; VGPRBlocks: 5
; NumSGPRsForWavesPerEU: 36
; NumVGPRsForWavesPerEU: 41
; Occupancy: 16
; WaveLimiterHint : 1
; COMPUTE_PGM_RSRC2:SCRATCH_EN: 1
; COMPUTE_PGM_RSRC2:USER_SGPR: 8
; COMPUTE_PGM_RSRC2:TRAP_HANDLER: 0
; COMPUTE_PGM_RSRC2:TGID_X_EN: 1
; COMPUTE_PGM_RSRC2:TGID_Y_EN: 0
; COMPUTE_PGM_RSRC2:TGID_Z_EN: 0
; COMPUTE_PGM_RSRC2:TIDIG_COMP_CNT: 0
	.section	.text._Z17wvSplitKQ_hf_sml_I6__halfN3c1013Float8_e4m3fnELi64ELi2ELi16ELi16ELi2ELi1EEviiiPKT0_S5_PT_PKfS9_ii,"axG",@progbits,_Z17wvSplitKQ_hf_sml_I6__halfN3c1013Float8_e4m3fnELi64ELi2ELi16ELi16ELi2ELi1EEviiiPKT0_S5_PT_PKfS9_ii,comdat
	.protected	_Z17wvSplitKQ_hf_sml_I6__halfN3c1013Float8_e4m3fnELi64ELi2ELi16ELi16ELi2ELi1EEviiiPKT0_S5_PT_PKfS9_ii ; -- Begin function _Z17wvSplitKQ_hf_sml_I6__halfN3c1013Float8_e4m3fnELi64ELi2ELi16ELi16ELi2ELi1EEviiiPKT0_S5_PT_PKfS9_ii
	.globl	_Z17wvSplitKQ_hf_sml_I6__halfN3c1013Float8_e4m3fnELi64ELi2ELi16ELi16ELi2ELi1EEviiiPKT0_S5_PT_PKfS9_ii
	.p2align	8
	.type	_Z17wvSplitKQ_hf_sml_I6__halfN3c1013Float8_e4m3fnELi64ELi2ELi16ELi16ELi2ELi1EEviiiPKT0_S5_PT_PKfS9_ii,@function
_Z17wvSplitKQ_hf_sml_I6__halfN3c1013Float8_e4m3fnELi64ELi2ELi16ELi16ELi2ELi1EEviiiPKT0_S5_PT_PKfS9_ii: ; @_Z17wvSplitKQ_hf_sml_I6__halfN3c1013Float8_e4m3fnELi64ELi2ELi16ELi16ELi2ELi1EEviiiPKT0_S5_PT_PKfS9_ii
; %bb.0:
	s_add_u32 s6, s6, s9
	s_mov_b32 s32, 0
	s_addc_u32 s7, s7, 0
	s_setreg_b32 hwreg(HW_REG_FLAT_SCR_LO), s6
	s_setreg_b32 hwreg(HW_REG_FLAT_SCR_HI), s7
	s_add_u32 s0, s0, s9
	s_addc_u32 s1, s1, 0
	s_add_u32 s8, s4, 64
	s_addc_u32 s9, s5, 0
	s_getpc_b64 s[4:5]
	s_add_u32 s4, s4, __PRETTY_FUNCTION__._Z17wvSplitKQ_hf_sml_I6__halfN3c1013Float8_e4m3fnELi64ELi2ELi16ELi16ELi2ELi1EEviiiPKT0_S5_PT_PKfS9_ii@rel32@lo+4
	s_addc_u32 s5, s5, __PRETTY_FUNCTION__._Z17wvSplitKQ_hf_sml_I6__halfN3c1013Float8_e4m3fnELi64ELi2ELi16ELi16ELi2ELi1EEviiiPKT0_S5_PT_PKfS9_ii@rel32@hi+12
	v_mov_b32_e32 v0, 0x5c1
	v_mov_b32_e32 v1, s4
	v_mov_b32_e32 v2, s5
	s_getpc_b64 s[6:7]
	s_add_u32 s6, s6, __assert_fail@rel32@lo+4
	s_addc_u32 s7, s7, __assert_fail@rel32@hi+12
	s_swappc_b64 s[30:31], s[6:7]
	.section	.rodata,"a",@progbits
	.p2align	6, 0x0
	.amdhsa_kernel _Z17wvSplitKQ_hf_sml_I6__halfN3c1013Float8_e4m3fnELi64ELi2ELi16ELi16ELi2ELi1EEviiiPKT0_S5_PT_PKfS9_ii
		.amdhsa_group_segment_fixed_size 0
		.amdhsa_private_segment_fixed_size 64
		.amdhsa_kernarg_size 320
		.amdhsa_user_sgpr_count 8
		.amdhsa_user_sgpr_private_segment_buffer 1
		.amdhsa_user_sgpr_dispatch_ptr 0
		.amdhsa_user_sgpr_queue_ptr 0
		.amdhsa_user_sgpr_kernarg_segment_ptr 1
		.amdhsa_user_sgpr_dispatch_id 0
		.amdhsa_user_sgpr_flat_scratch_init 1
		.amdhsa_user_sgpr_private_segment_size 0
		.amdhsa_wavefront_size32 1
		.amdhsa_uses_dynamic_stack 0
		.amdhsa_system_sgpr_private_segment_wavefront_offset 1
		.amdhsa_system_sgpr_workgroup_id_x 1
		.amdhsa_system_sgpr_workgroup_id_y 0
		.amdhsa_system_sgpr_workgroup_id_z 0
		.amdhsa_system_sgpr_workgroup_info 0
		.amdhsa_system_vgpr_workitem_id 0
		.amdhsa_next_free_vgpr 41
		.amdhsa_next_free_sgpr 34
		.amdhsa_reserve_vcc 1
		.amdhsa_reserve_flat_scratch 1
		.amdhsa_float_round_mode_32 0
		.amdhsa_float_round_mode_16_64 0
		.amdhsa_float_denorm_mode_32 3
		.amdhsa_float_denorm_mode_16_64 3
		.amdhsa_dx10_clamp 1
		.amdhsa_ieee_mode 1
		.amdhsa_fp16_overflow 0
		.amdhsa_workgroup_processor_mode 1
		.amdhsa_memory_ordered 1
		.amdhsa_forward_progress 1
		.amdhsa_shared_vgpr_count 0
		.amdhsa_exception_fp_ieee_invalid_op 0
		.amdhsa_exception_fp_denorm_src 0
		.amdhsa_exception_fp_ieee_div_zero 0
		.amdhsa_exception_fp_ieee_overflow 0
		.amdhsa_exception_fp_ieee_underflow 0
		.amdhsa_exception_fp_ieee_inexact 0
		.amdhsa_exception_int_div_zero 0
	.end_amdhsa_kernel
	.section	.text._Z17wvSplitKQ_hf_sml_I6__halfN3c1013Float8_e4m3fnELi64ELi2ELi16ELi16ELi2ELi1EEviiiPKT0_S5_PT_PKfS9_ii,"axG",@progbits,_Z17wvSplitKQ_hf_sml_I6__halfN3c1013Float8_e4m3fnELi64ELi2ELi16ELi16ELi2ELi1EEviiiPKT0_S5_PT_PKfS9_ii,comdat
.Lfunc_end34:
	.size	_Z17wvSplitKQ_hf_sml_I6__halfN3c1013Float8_e4m3fnELi64ELi2ELi16ELi16ELi2ELi1EEviiiPKT0_S5_PT_PKfS9_ii, .Lfunc_end34-_Z17wvSplitKQ_hf_sml_I6__halfN3c1013Float8_e4m3fnELi64ELi2ELi16ELi16ELi2ELi1EEviiiPKT0_S5_PT_PKfS9_ii
                                        ; -- End function
	.set _Z17wvSplitKQ_hf_sml_I6__halfN3c1013Float8_e4m3fnELi64ELi2ELi16ELi16ELi2ELi1EEviiiPKT0_S5_PT_PKfS9_ii.num_vgpr, max(3, .L__assert_fail.num_vgpr)
	.set _Z17wvSplitKQ_hf_sml_I6__halfN3c1013Float8_e4m3fnELi64ELi2ELi16ELi16ELi2ELi1EEviiiPKT0_S5_PT_PKfS9_ii.num_agpr, max(0, .L__assert_fail.num_agpr)
	.set _Z17wvSplitKQ_hf_sml_I6__halfN3c1013Float8_e4m3fnELi64ELi2ELi16ELi16ELi2ELi1EEviiiPKT0_S5_PT_PKfS9_ii.numbered_sgpr, max(33, .L__assert_fail.numbered_sgpr)
	.set _Z17wvSplitKQ_hf_sml_I6__halfN3c1013Float8_e4m3fnELi64ELi2ELi16ELi16ELi2ELi1EEviiiPKT0_S5_PT_PKfS9_ii.num_named_barrier, max(0, .L__assert_fail.num_named_barrier)
	.set _Z17wvSplitKQ_hf_sml_I6__halfN3c1013Float8_e4m3fnELi64ELi2ELi16ELi16ELi2ELi1EEviiiPKT0_S5_PT_PKfS9_ii.private_seg_size, 0+max(.L__assert_fail.private_seg_size)
	.set _Z17wvSplitKQ_hf_sml_I6__halfN3c1013Float8_e4m3fnELi64ELi2ELi16ELi16ELi2ELi1EEviiiPKT0_S5_PT_PKfS9_ii.uses_vcc, or(1, .L__assert_fail.uses_vcc)
	.set _Z17wvSplitKQ_hf_sml_I6__halfN3c1013Float8_e4m3fnELi64ELi2ELi16ELi16ELi2ELi1EEviiiPKT0_S5_PT_PKfS9_ii.uses_flat_scratch, or(1, .L__assert_fail.uses_flat_scratch)
	.set _Z17wvSplitKQ_hf_sml_I6__halfN3c1013Float8_e4m3fnELi64ELi2ELi16ELi16ELi2ELi1EEviiiPKT0_S5_PT_PKfS9_ii.has_dyn_sized_stack, or(0, .L__assert_fail.has_dyn_sized_stack)
	.set _Z17wvSplitKQ_hf_sml_I6__halfN3c1013Float8_e4m3fnELi64ELi2ELi16ELi16ELi2ELi1EEviiiPKT0_S5_PT_PKfS9_ii.has_recursion, or(0, .L__assert_fail.has_recursion)
	.set _Z17wvSplitKQ_hf_sml_I6__halfN3c1013Float8_e4m3fnELi64ELi2ELi16ELi16ELi2ELi1EEviiiPKT0_S5_PT_PKfS9_ii.has_indirect_call, or(0, .L__assert_fail.has_indirect_call)
	.section	.AMDGPU.csdata,"",@progbits
; Kernel info:
; codeLenInByte = 96
; TotalNumSgprs: 36
; NumVgprs: 41
; ScratchSize: 64
; MemoryBound: 0
; FloatMode: 240
; IeeeMode: 1
; LDSByteSize: 0 bytes/workgroup (compile time only)
; SGPRBlocks: 0
; VGPRBlocks: 5
; NumSGPRsForWavesPerEU: 36
; NumVGPRsForWavesPerEU: 41
; Occupancy: 16
; WaveLimiterHint : 1
; COMPUTE_PGM_RSRC2:SCRATCH_EN: 1
; COMPUTE_PGM_RSRC2:USER_SGPR: 8
; COMPUTE_PGM_RSRC2:TRAP_HANDLER: 0
; COMPUTE_PGM_RSRC2:TGID_X_EN: 1
; COMPUTE_PGM_RSRC2:TGID_Y_EN: 0
; COMPUTE_PGM_RSRC2:TGID_Z_EN: 0
; COMPUTE_PGM_RSRC2:TIDIG_COMP_CNT: 0
	.section	.text._Z13wvSplitKQ_hf_I6__halfN3c1013Float8_e4m3fnELi64ELi2ELi16ELi16ELi2ELi1EEviiiPKT0_S5_PT_PKfS9_ii,"axG",@progbits,_Z13wvSplitKQ_hf_I6__halfN3c1013Float8_e4m3fnELi64ELi2ELi16ELi16ELi2ELi1EEviiiPKT0_S5_PT_PKfS9_ii,comdat
	.protected	_Z13wvSplitKQ_hf_I6__halfN3c1013Float8_e4m3fnELi64ELi2ELi16ELi16ELi2ELi1EEviiiPKT0_S5_PT_PKfS9_ii ; -- Begin function _Z13wvSplitKQ_hf_I6__halfN3c1013Float8_e4m3fnELi64ELi2ELi16ELi16ELi2ELi1EEviiiPKT0_S5_PT_PKfS9_ii
	.globl	_Z13wvSplitKQ_hf_I6__halfN3c1013Float8_e4m3fnELi64ELi2ELi16ELi16ELi2ELi1EEviiiPKT0_S5_PT_PKfS9_ii
	.p2align	8
	.type	_Z13wvSplitKQ_hf_I6__halfN3c1013Float8_e4m3fnELi64ELi2ELi16ELi16ELi2ELi1EEviiiPKT0_S5_PT_PKfS9_ii,@function
_Z13wvSplitKQ_hf_I6__halfN3c1013Float8_e4m3fnELi64ELi2ELi16ELi16ELi2ELi1EEviiiPKT0_S5_PT_PKfS9_ii: ; @_Z13wvSplitKQ_hf_I6__halfN3c1013Float8_e4m3fnELi64ELi2ELi16ELi16ELi2ELi1EEviiiPKT0_S5_PT_PKfS9_ii
; %bb.0:
	s_add_u32 s6, s6, s9
	s_mov_b32 s32, 0
	s_addc_u32 s7, s7, 0
	s_setreg_b32 hwreg(HW_REG_FLAT_SCR_LO), s6
	s_setreg_b32 hwreg(HW_REG_FLAT_SCR_HI), s7
	s_add_u32 s0, s0, s9
	s_addc_u32 s1, s1, 0
	s_add_u32 s8, s4, 64
	s_addc_u32 s9, s5, 0
	s_getpc_b64 s[4:5]
	s_add_u32 s4, s4, __PRETTY_FUNCTION__._Z13wvSplitKQ_hf_I6__halfN3c1013Float8_e4m3fnELi64ELi2ELi16ELi16ELi2ELi1EEviiiPKT0_S5_PT_PKfS9_ii@rel32@lo+4
	s_addc_u32 s5, s5, __PRETTY_FUNCTION__._Z13wvSplitKQ_hf_I6__halfN3c1013Float8_e4m3fnELi64ELi2ELi16ELi16ELi2ELi1EEviiiPKT0_S5_PT_PKfS9_ii@rel32@hi+12
	v_mov_b32_e32 v0, 0x66e
	v_mov_b32_e32 v1, s4
	;; [unrolled: 1-line block ×3, first 2 shown]
	s_getpc_b64 s[6:7]
	s_add_u32 s6, s6, __assert_fail@rel32@lo+4
	s_addc_u32 s7, s7, __assert_fail@rel32@hi+12
	s_swappc_b64 s[30:31], s[6:7]
	.section	.rodata,"a",@progbits
	.p2align	6, 0x0
	.amdhsa_kernel _Z13wvSplitKQ_hf_I6__halfN3c1013Float8_e4m3fnELi64ELi2ELi16ELi16ELi2ELi1EEviiiPKT0_S5_PT_PKfS9_ii
		.amdhsa_group_segment_fixed_size 0
		.amdhsa_private_segment_fixed_size 64
		.amdhsa_kernarg_size 320
		.amdhsa_user_sgpr_count 8
		.amdhsa_user_sgpr_private_segment_buffer 1
		.amdhsa_user_sgpr_dispatch_ptr 0
		.amdhsa_user_sgpr_queue_ptr 0
		.amdhsa_user_sgpr_kernarg_segment_ptr 1
		.amdhsa_user_sgpr_dispatch_id 0
		.amdhsa_user_sgpr_flat_scratch_init 1
		.amdhsa_user_sgpr_private_segment_size 0
		.amdhsa_wavefront_size32 1
		.amdhsa_uses_dynamic_stack 0
		.amdhsa_system_sgpr_private_segment_wavefront_offset 1
		.amdhsa_system_sgpr_workgroup_id_x 1
		.amdhsa_system_sgpr_workgroup_id_y 0
		.amdhsa_system_sgpr_workgroup_id_z 0
		.amdhsa_system_sgpr_workgroup_info 0
		.amdhsa_system_vgpr_workitem_id 0
		.amdhsa_next_free_vgpr 41
		.amdhsa_next_free_sgpr 34
		.amdhsa_reserve_vcc 1
		.amdhsa_reserve_flat_scratch 1
		.amdhsa_float_round_mode_32 0
		.amdhsa_float_round_mode_16_64 0
		.amdhsa_float_denorm_mode_32 3
		.amdhsa_float_denorm_mode_16_64 3
		.amdhsa_dx10_clamp 1
		.amdhsa_ieee_mode 1
		.amdhsa_fp16_overflow 0
		.amdhsa_workgroup_processor_mode 1
		.amdhsa_memory_ordered 1
		.amdhsa_forward_progress 1
		.amdhsa_shared_vgpr_count 0
		.amdhsa_exception_fp_ieee_invalid_op 0
		.amdhsa_exception_fp_denorm_src 0
		.amdhsa_exception_fp_ieee_div_zero 0
		.amdhsa_exception_fp_ieee_overflow 0
		.amdhsa_exception_fp_ieee_underflow 0
		.amdhsa_exception_fp_ieee_inexact 0
		.amdhsa_exception_int_div_zero 0
	.end_amdhsa_kernel
	.section	.text._Z13wvSplitKQ_hf_I6__halfN3c1013Float8_e4m3fnELi64ELi2ELi16ELi16ELi2ELi1EEviiiPKT0_S5_PT_PKfS9_ii,"axG",@progbits,_Z13wvSplitKQ_hf_I6__halfN3c1013Float8_e4m3fnELi64ELi2ELi16ELi16ELi2ELi1EEviiiPKT0_S5_PT_PKfS9_ii,comdat
.Lfunc_end35:
	.size	_Z13wvSplitKQ_hf_I6__halfN3c1013Float8_e4m3fnELi64ELi2ELi16ELi16ELi2ELi1EEviiiPKT0_S5_PT_PKfS9_ii, .Lfunc_end35-_Z13wvSplitKQ_hf_I6__halfN3c1013Float8_e4m3fnELi64ELi2ELi16ELi16ELi2ELi1EEviiiPKT0_S5_PT_PKfS9_ii
                                        ; -- End function
	.set _Z13wvSplitKQ_hf_I6__halfN3c1013Float8_e4m3fnELi64ELi2ELi16ELi16ELi2ELi1EEviiiPKT0_S5_PT_PKfS9_ii.num_vgpr, max(3, .L__assert_fail.num_vgpr)
	.set _Z13wvSplitKQ_hf_I6__halfN3c1013Float8_e4m3fnELi64ELi2ELi16ELi16ELi2ELi1EEviiiPKT0_S5_PT_PKfS9_ii.num_agpr, max(0, .L__assert_fail.num_agpr)
	.set _Z13wvSplitKQ_hf_I6__halfN3c1013Float8_e4m3fnELi64ELi2ELi16ELi16ELi2ELi1EEviiiPKT0_S5_PT_PKfS9_ii.numbered_sgpr, max(33, .L__assert_fail.numbered_sgpr)
	.set _Z13wvSplitKQ_hf_I6__halfN3c1013Float8_e4m3fnELi64ELi2ELi16ELi16ELi2ELi1EEviiiPKT0_S5_PT_PKfS9_ii.num_named_barrier, max(0, .L__assert_fail.num_named_barrier)
	.set _Z13wvSplitKQ_hf_I6__halfN3c1013Float8_e4m3fnELi64ELi2ELi16ELi16ELi2ELi1EEviiiPKT0_S5_PT_PKfS9_ii.private_seg_size, 0+max(.L__assert_fail.private_seg_size)
	.set _Z13wvSplitKQ_hf_I6__halfN3c1013Float8_e4m3fnELi64ELi2ELi16ELi16ELi2ELi1EEviiiPKT0_S5_PT_PKfS9_ii.uses_vcc, or(1, .L__assert_fail.uses_vcc)
	.set _Z13wvSplitKQ_hf_I6__halfN3c1013Float8_e4m3fnELi64ELi2ELi16ELi16ELi2ELi1EEviiiPKT0_S5_PT_PKfS9_ii.uses_flat_scratch, or(1, .L__assert_fail.uses_flat_scratch)
	.set _Z13wvSplitKQ_hf_I6__halfN3c1013Float8_e4m3fnELi64ELi2ELi16ELi16ELi2ELi1EEviiiPKT0_S5_PT_PKfS9_ii.has_dyn_sized_stack, or(0, .L__assert_fail.has_dyn_sized_stack)
	.set _Z13wvSplitKQ_hf_I6__halfN3c1013Float8_e4m3fnELi64ELi2ELi16ELi16ELi2ELi1EEviiiPKT0_S5_PT_PKfS9_ii.has_recursion, or(0, .L__assert_fail.has_recursion)
	.set _Z13wvSplitKQ_hf_I6__halfN3c1013Float8_e4m3fnELi64ELi2ELi16ELi16ELi2ELi1EEviiiPKT0_S5_PT_PKfS9_ii.has_indirect_call, or(0, .L__assert_fail.has_indirect_call)
	.section	.AMDGPU.csdata,"",@progbits
; Kernel info:
; codeLenInByte = 96
; TotalNumSgprs: 36
; NumVgprs: 41
; ScratchSize: 64
; MemoryBound: 0
; FloatMode: 240
; IeeeMode: 1
; LDSByteSize: 0 bytes/workgroup (compile time only)
; SGPRBlocks: 0
; VGPRBlocks: 5
; NumSGPRsForWavesPerEU: 36
; NumVGPRsForWavesPerEU: 41
; Occupancy: 16
; WaveLimiterHint : 1
; COMPUTE_PGM_RSRC2:SCRATCH_EN: 1
; COMPUTE_PGM_RSRC2:USER_SGPR: 8
; COMPUTE_PGM_RSRC2:TRAP_HANDLER: 0
; COMPUTE_PGM_RSRC2:TGID_X_EN: 1
; COMPUTE_PGM_RSRC2:TGID_Y_EN: 0
; COMPUTE_PGM_RSRC2:TGID_Z_EN: 0
; COMPUTE_PGM_RSRC2:TIDIG_COMP_CNT: 0
	.section	.text._Z17wvSplitKQ_hf_sml_I6__halfN3c1013Float8_e4m3fnELi64ELi2ELi16ELi16ELi2ELi2EEviiiPKT0_S5_PT_PKfS9_ii,"axG",@progbits,_Z17wvSplitKQ_hf_sml_I6__halfN3c1013Float8_e4m3fnELi64ELi2ELi16ELi16ELi2ELi2EEviiiPKT0_S5_PT_PKfS9_ii,comdat
	.protected	_Z17wvSplitKQ_hf_sml_I6__halfN3c1013Float8_e4m3fnELi64ELi2ELi16ELi16ELi2ELi2EEviiiPKT0_S5_PT_PKfS9_ii ; -- Begin function _Z17wvSplitKQ_hf_sml_I6__halfN3c1013Float8_e4m3fnELi64ELi2ELi16ELi16ELi2ELi2EEviiiPKT0_S5_PT_PKfS9_ii
	.globl	_Z17wvSplitKQ_hf_sml_I6__halfN3c1013Float8_e4m3fnELi64ELi2ELi16ELi16ELi2ELi2EEviiiPKT0_S5_PT_PKfS9_ii
	.p2align	8
	.type	_Z17wvSplitKQ_hf_sml_I6__halfN3c1013Float8_e4m3fnELi64ELi2ELi16ELi16ELi2ELi2EEviiiPKT0_S5_PT_PKfS9_ii,@function
_Z17wvSplitKQ_hf_sml_I6__halfN3c1013Float8_e4m3fnELi64ELi2ELi16ELi16ELi2ELi2EEviiiPKT0_S5_PT_PKfS9_ii: ; @_Z17wvSplitKQ_hf_sml_I6__halfN3c1013Float8_e4m3fnELi64ELi2ELi16ELi16ELi2ELi2EEviiiPKT0_S5_PT_PKfS9_ii
; %bb.0:
	s_add_u32 s6, s6, s9
	s_mov_b32 s32, 0
	s_addc_u32 s7, s7, 0
	s_setreg_b32 hwreg(HW_REG_FLAT_SCR_LO), s6
	s_setreg_b32 hwreg(HW_REG_FLAT_SCR_HI), s7
	s_add_u32 s0, s0, s9
	s_addc_u32 s1, s1, 0
	s_add_u32 s8, s4, 64
	s_addc_u32 s9, s5, 0
	s_getpc_b64 s[4:5]
	s_add_u32 s4, s4, __PRETTY_FUNCTION__._Z17wvSplitKQ_hf_sml_I6__halfN3c1013Float8_e4m3fnELi64ELi2ELi16ELi16ELi2ELi2EEviiiPKT0_S5_PT_PKfS9_ii@rel32@lo+4
	s_addc_u32 s5, s5, __PRETTY_FUNCTION__._Z17wvSplitKQ_hf_sml_I6__halfN3c1013Float8_e4m3fnELi64ELi2ELi16ELi16ELi2ELi2EEviiiPKT0_S5_PT_PKfS9_ii@rel32@hi+12
	v_mov_b32_e32 v0, 0x5c1
	v_mov_b32_e32 v1, s4
	;; [unrolled: 1-line block ×3, first 2 shown]
	s_getpc_b64 s[6:7]
	s_add_u32 s6, s6, __assert_fail@rel32@lo+4
	s_addc_u32 s7, s7, __assert_fail@rel32@hi+12
	s_swappc_b64 s[30:31], s[6:7]
	.section	.rodata,"a",@progbits
	.p2align	6, 0x0
	.amdhsa_kernel _Z17wvSplitKQ_hf_sml_I6__halfN3c1013Float8_e4m3fnELi64ELi2ELi16ELi16ELi2ELi2EEviiiPKT0_S5_PT_PKfS9_ii
		.amdhsa_group_segment_fixed_size 0
		.amdhsa_private_segment_fixed_size 64
		.amdhsa_kernarg_size 320
		.amdhsa_user_sgpr_count 8
		.amdhsa_user_sgpr_private_segment_buffer 1
		.amdhsa_user_sgpr_dispatch_ptr 0
		.amdhsa_user_sgpr_queue_ptr 0
		.amdhsa_user_sgpr_kernarg_segment_ptr 1
		.amdhsa_user_sgpr_dispatch_id 0
		.amdhsa_user_sgpr_flat_scratch_init 1
		.amdhsa_user_sgpr_private_segment_size 0
		.amdhsa_wavefront_size32 1
		.amdhsa_uses_dynamic_stack 0
		.amdhsa_system_sgpr_private_segment_wavefront_offset 1
		.amdhsa_system_sgpr_workgroup_id_x 1
		.amdhsa_system_sgpr_workgroup_id_y 0
		.amdhsa_system_sgpr_workgroup_id_z 0
		.amdhsa_system_sgpr_workgroup_info 0
		.amdhsa_system_vgpr_workitem_id 0
		.amdhsa_next_free_vgpr 41
		.amdhsa_next_free_sgpr 34
		.amdhsa_reserve_vcc 1
		.amdhsa_reserve_flat_scratch 1
		.amdhsa_float_round_mode_32 0
		.amdhsa_float_round_mode_16_64 0
		.amdhsa_float_denorm_mode_32 3
		.amdhsa_float_denorm_mode_16_64 3
		.amdhsa_dx10_clamp 1
		.amdhsa_ieee_mode 1
		.amdhsa_fp16_overflow 0
		.amdhsa_workgroup_processor_mode 1
		.amdhsa_memory_ordered 1
		.amdhsa_forward_progress 1
		.amdhsa_shared_vgpr_count 0
		.amdhsa_exception_fp_ieee_invalid_op 0
		.amdhsa_exception_fp_denorm_src 0
		.amdhsa_exception_fp_ieee_div_zero 0
		.amdhsa_exception_fp_ieee_overflow 0
		.amdhsa_exception_fp_ieee_underflow 0
		.amdhsa_exception_fp_ieee_inexact 0
		.amdhsa_exception_int_div_zero 0
	.end_amdhsa_kernel
	.section	.text._Z17wvSplitKQ_hf_sml_I6__halfN3c1013Float8_e4m3fnELi64ELi2ELi16ELi16ELi2ELi2EEviiiPKT0_S5_PT_PKfS9_ii,"axG",@progbits,_Z17wvSplitKQ_hf_sml_I6__halfN3c1013Float8_e4m3fnELi64ELi2ELi16ELi16ELi2ELi2EEviiiPKT0_S5_PT_PKfS9_ii,comdat
.Lfunc_end36:
	.size	_Z17wvSplitKQ_hf_sml_I6__halfN3c1013Float8_e4m3fnELi64ELi2ELi16ELi16ELi2ELi2EEviiiPKT0_S5_PT_PKfS9_ii, .Lfunc_end36-_Z17wvSplitKQ_hf_sml_I6__halfN3c1013Float8_e4m3fnELi64ELi2ELi16ELi16ELi2ELi2EEviiiPKT0_S5_PT_PKfS9_ii
                                        ; -- End function
	.set _Z17wvSplitKQ_hf_sml_I6__halfN3c1013Float8_e4m3fnELi64ELi2ELi16ELi16ELi2ELi2EEviiiPKT0_S5_PT_PKfS9_ii.num_vgpr, max(3, .L__assert_fail.num_vgpr)
	.set _Z17wvSplitKQ_hf_sml_I6__halfN3c1013Float8_e4m3fnELi64ELi2ELi16ELi16ELi2ELi2EEviiiPKT0_S5_PT_PKfS9_ii.num_agpr, max(0, .L__assert_fail.num_agpr)
	.set _Z17wvSplitKQ_hf_sml_I6__halfN3c1013Float8_e4m3fnELi64ELi2ELi16ELi16ELi2ELi2EEviiiPKT0_S5_PT_PKfS9_ii.numbered_sgpr, max(33, .L__assert_fail.numbered_sgpr)
	.set _Z17wvSplitKQ_hf_sml_I6__halfN3c1013Float8_e4m3fnELi64ELi2ELi16ELi16ELi2ELi2EEviiiPKT0_S5_PT_PKfS9_ii.num_named_barrier, max(0, .L__assert_fail.num_named_barrier)
	.set _Z17wvSplitKQ_hf_sml_I6__halfN3c1013Float8_e4m3fnELi64ELi2ELi16ELi16ELi2ELi2EEviiiPKT0_S5_PT_PKfS9_ii.private_seg_size, 0+max(.L__assert_fail.private_seg_size)
	.set _Z17wvSplitKQ_hf_sml_I6__halfN3c1013Float8_e4m3fnELi64ELi2ELi16ELi16ELi2ELi2EEviiiPKT0_S5_PT_PKfS9_ii.uses_vcc, or(1, .L__assert_fail.uses_vcc)
	.set _Z17wvSplitKQ_hf_sml_I6__halfN3c1013Float8_e4m3fnELi64ELi2ELi16ELi16ELi2ELi2EEviiiPKT0_S5_PT_PKfS9_ii.uses_flat_scratch, or(1, .L__assert_fail.uses_flat_scratch)
	.set _Z17wvSplitKQ_hf_sml_I6__halfN3c1013Float8_e4m3fnELi64ELi2ELi16ELi16ELi2ELi2EEviiiPKT0_S5_PT_PKfS9_ii.has_dyn_sized_stack, or(0, .L__assert_fail.has_dyn_sized_stack)
	.set _Z17wvSplitKQ_hf_sml_I6__halfN3c1013Float8_e4m3fnELi64ELi2ELi16ELi16ELi2ELi2EEviiiPKT0_S5_PT_PKfS9_ii.has_recursion, or(0, .L__assert_fail.has_recursion)
	.set _Z17wvSplitKQ_hf_sml_I6__halfN3c1013Float8_e4m3fnELi64ELi2ELi16ELi16ELi2ELi2EEviiiPKT0_S5_PT_PKfS9_ii.has_indirect_call, or(0, .L__assert_fail.has_indirect_call)
	.section	.AMDGPU.csdata,"",@progbits
; Kernel info:
; codeLenInByte = 96
; TotalNumSgprs: 36
; NumVgprs: 41
; ScratchSize: 64
; MemoryBound: 0
; FloatMode: 240
; IeeeMode: 1
; LDSByteSize: 0 bytes/workgroup (compile time only)
; SGPRBlocks: 0
; VGPRBlocks: 5
; NumSGPRsForWavesPerEU: 36
; NumVGPRsForWavesPerEU: 41
; Occupancy: 16
; WaveLimiterHint : 1
; COMPUTE_PGM_RSRC2:SCRATCH_EN: 1
; COMPUTE_PGM_RSRC2:USER_SGPR: 8
; COMPUTE_PGM_RSRC2:TRAP_HANDLER: 0
; COMPUTE_PGM_RSRC2:TGID_X_EN: 1
; COMPUTE_PGM_RSRC2:TGID_Y_EN: 0
; COMPUTE_PGM_RSRC2:TGID_Z_EN: 0
; COMPUTE_PGM_RSRC2:TIDIG_COMP_CNT: 0
	.section	.text._Z13wvSplitKQ_hf_I6__halfN3c1013Float8_e4m3fnELi64ELi2ELi16ELi16ELi2ELi2EEviiiPKT0_S5_PT_PKfS9_ii,"axG",@progbits,_Z13wvSplitKQ_hf_I6__halfN3c1013Float8_e4m3fnELi64ELi2ELi16ELi16ELi2ELi2EEviiiPKT0_S5_PT_PKfS9_ii,comdat
	.protected	_Z13wvSplitKQ_hf_I6__halfN3c1013Float8_e4m3fnELi64ELi2ELi16ELi16ELi2ELi2EEviiiPKT0_S5_PT_PKfS9_ii ; -- Begin function _Z13wvSplitKQ_hf_I6__halfN3c1013Float8_e4m3fnELi64ELi2ELi16ELi16ELi2ELi2EEviiiPKT0_S5_PT_PKfS9_ii
	.globl	_Z13wvSplitKQ_hf_I6__halfN3c1013Float8_e4m3fnELi64ELi2ELi16ELi16ELi2ELi2EEviiiPKT0_S5_PT_PKfS9_ii
	.p2align	8
	.type	_Z13wvSplitKQ_hf_I6__halfN3c1013Float8_e4m3fnELi64ELi2ELi16ELi16ELi2ELi2EEviiiPKT0_S5_PT_PKfS9_ii,@function
_Z13wvSplitKQ_hf_I6__halfN3c1013Float8_e4m3fnELi64ELi2ELi16ELi16ELi2ELi2EEviiiPKT0_S5_PT_PKfS9_ii: ; @_Z13wvSplitKQ_hf_I6__halfN3c1013Float8_e4m3fnELi64ELi2ELi16ELi16ELi2ELi2EEviiiPKT0_S5_PT_PKfS9_ii
; %bb.0:
	s_add_u32 s6, s6, s9
	s_mov_b32 s32, 0
	s_addc_u32 s7, s7, 0
	s_setreg_b32 hwreg(HW_REG_FLAT_SCR_LO), s6
	s_setreg_b32 hwreg(HW_REG_FLAT_SCR_HI), s7
	s_add_u32 s0, s0, s9
	s_addc_u32 s1, s1, 0
	s_add_u32 s8, s4, 64
	s_addc_u32 s9, s5, 0
	s_getpc_b64 s[4:5]
	s_add_u32 s4, s4, __PRETTY_FUNCTION__._Z13wvSplitKQ_hf_I6__halfN3c1013Float8_e4m3fnELi64ELi2ELi16ELi16ELi2ELi2EEviiiPKT0_S5_PT_PKfS9_ii@rel32@lo+4
	s_addc_u32 s5, s5, __PRETTY_FUNCTION__._Z13wvSplitKQ_hf_I6__halfN3c1013Float8_e4m3fnELi64ELi2ELi16ELi16ELi2ELi2EEviiiPKT0_S5_PT_PKfS9_ii@rel32@hi+12
	v_mov_b32_e32 v0, 0x66e
	v_mov_b32_e32 v1, s4
	;; [unrolled: 1-line block ×3, first 2 shown]
	s_getpc_b64 s[6:7]
	s_add_u32 s6, s6, __assert_fail@rel32@lo+4
	s_addc_u32 s7, s7, __assert_fail@rel32@hi+12
	s_swappc_b64 s[30:31], s[6:7]
	.section	.rodata,"a",@progbits
	.p2align	6, 0x0
	.amdhsa_kernel _Z13wvSplitKQ_hf_I6__halfN3c1013Float8_e4m3fnELi64ELi2ELi16ELi16ELi2ELi2EEviiiPKT0_S5_PT_PKfS9_ii
		.amdhsa_group_segment_fixed_size 0
		.amdhsa_private_segment_fixed_size 64
		.amdhsa_kernarg_size 320
		.amdhsa_user_sgpr_count 8
		.amdhsa_user_sgpr_private_segment_buffer 1
		.amdhsa_user_sgpr_dispatch_ptr 0
		.amdhsa_user_sgpr_queue_ptr 0
		.amdhsa_user_sgpr_kernarg_segment_ptr 1
		.amdhsa_user_sgpr_dispatch_id 0
		.amdhsa_user_sgpr_flat_scratch_init 1
		.amdhsa_user_sgpr_private_segment_size 0
		.amdhsa_wavefront_size32 1
		.amdhsa_uses_dynamic_stack 0
		.amdhsa_system_sgpr_private_segment_wavefront_offset 1
		.amdhsa_system_sgpr_workgroup_id_x 1
		.amdhsa_system_sgpr_workgroup_id_y 0
		.amdhsa_system_sgpr_workgroup_id_z 0
		.amdhsa_system_sgpr_workgroup_info 0
		.amdhsa_system_vgpr_workitem_id 0
		.amdhsa_next_free_vgpr 41
		.amdhsa_next_free_sgpr 34
		.amdhsa_reserve_vcc 1
		.amdhsa_reserve_flat_scratch 1
		.amdhsa_float_round_mode_32 0
		.amdhsa_float_round_mode_16_64 0
		.amdhsa_float_denorm_mode_32 3
		.amdhsa_float_denorm_mode_16_64 3
		.amdhsa_dx10_clamp 1
		.amdhsa_ieee_mode 1
		.amdhsa_fp16_overflow 0
		.amdhsa_workgroup_processor_mode 1
		.amdhsa_memory_ordered 1
		.amdhsa_forward_progress 1
		.amdhsa_shared_vgpr_count 0
		.amdhsa_exception_fp_ieee_invalid_op 0
		.amdhsa_exception_fp_denorm_src 0
		.amdhsa_exception_fp_ieee_div_zero 0
		.amdhsa_exception_fp_ieee_overflow 0
		.amdhsa_exception_fp_ieee_underflow 0
		.amdhsa_exception_fp_ieee_inexact 0
		.amdhsa_exception_int_div_zero 0
	.end_amdhsa_kernel
	.section	.text._Z13wvSplitKQ_hf_I6__halfN3c1013Float8_e4m3fnELi64ELi2ELi16ELi16ELi2ELi2EEviiiPKT0_S5_PT_PKfS9_ii,"axG",@progbits,_Z13wvSplitKQ_hf_I6__halfN3c1013Float8_e4m3fnELi64ELi2ELi16ELi16ELi2ELi2EEviiiPKT0_S5_PT_PKfS9_ii,comdat
.Lfunc_end37:
	.size	_Z13wvSplitKQ_hf_I6__halfN3c1013Float8_e4m3fnELi64ELi2ELi16ELi16ELi2ELi2EEviiiPKT0_S5_PT_PKfS9_ii, .Lfunc_end37-_Z13wvSplitKQ_hf_I6__halfN3c1013Float8_e4m3fnELi64ELi2ELi16ELi16ELi2ELi2EEviiiPKT0_S5_PT_PKfS9_ii
                                        ; -- End function
	.set _Z13wvSplitKQ_hf_I6__halfN3c1013Float8_e4m3fnELi64ELi2ELi16ELi16ELi2ELi2EEviiiPKT0_S5_PT_PKfS9_ii.num_vgpr, max(3, .L__assert_fail.num_vgpr)
	.set _Z13wvSplitKQ_hf_I6__halfN3c1013Float8_e4m3fnELi64ELi2ELi16ELi16ELi2ELi2EEviiiPKT0_S5_PT_PKfS9_ii.num_agpr, max(0, .L__assert_fail.num_agpr)
	.set _Z13wvSplitKQ_hf_I6__halfN3c1013Float8_e4m3fnELi64ELi2ELi16ELi16ELi2ELi2EEviiiPKT0_S5_PT_PKfS9_ii.numbered_sgpr, max(33, .L__assert_fail.numbered_sgpr)
	.set _Z13wvSplitKQ_hf_I6__halfN3c1013Float8_e4m3fnELi64ELi2ELi16ELi16ELi2ELi2EEviiiPKT0_S5_PT_PKfS9_ii.num_named_barrier, max(0, .L__assert_fail.num_named_barrier)
	.set _Z13wvSplitKQ_hf_I6__halfN3c1013Float8_e4m3fnELi64ELi2ELi16ELi16ELi2ELi2EEviiiPKT0_S5_PT_PKfS9_ii.private_seg_size, 0+max(.L__assert_fail.private_seg_size)
	.set _Z13wvSplitKQ_hf_I6__halfN3c1013Float8_e4m3fnELi64ELi2ELi16ELi16ELi2ELi2EEviiiPKT0_S5_PT_PKfS9_ii.uses_vcc, or(1, .L__assert_fail.uses_vcc)
	.set _Z13wvSplitKQ_hf_I6__halfN3c1013Float8_e4m3fnELi64ELi2ELi16ELi16ELi2ELi2EEviiiPKT0_S5_PT_PKfS9_ii.uses_flat_scratch, or(1, .L__assert_fail.uses_flat_scratch)
	.set _Z13wvSplitKQ_hf_I6__halfN3c1013Float8_e4m3fnELi64ELi2ELi16ELi16ELi2ELi2EEviiiPKT0_S5_PT_PKfS9_ii.has_dyn_sized_stack, or(0, .L__assert_fail.has_dyn_sized_stack)
	.set _Z13wvSplitKQ_hf_I6__halfN3c1013Float8_e4m3fnELi64ELi2ELi16ELi16ELi2ELi2EEviiiPKT0_S5_PT_PKfS9_ii.has_recursion, or(0, .L__assert_fail.has_recursion)
	.set _Z13wvSplitKQ_hf_I6__halfN3c1013Float8_e4m3fnELi64ELi2ELi16ELi16ELi2ELi2EEviiiPKT0_S5_PT_PKfS9_ii.has_indirect_call, or(0, .L__assert_fail.has_indirect_call)
	.section	.AMDGPU.csdata,"",@progbits
; Kernel info:
; codeLenInByte = 96
; TotalNumSgprs: 36
; NumVgprs: 41
; ScratchSize: 64
; MemoryBound: 0
; FloatMode: 240
; IeeeMode: 1
; LDSByteSize: 0 bytes/workgroup (compile time only)
; SGPRBlocks: 0
; VGPRBlocks: 5
; NumSGPRsForWavesPerEU: 36
; NumVGPRsForWavesPerEU: 41
; Occupancy: 16
; WaveLimiterHint : 1
; COMPUTE_PGM_RSRC2:SCRATCH_EN: 1
; COMPUTE_PGM_RSRC2:USER_SGPR: 8
; COMPUTE_PGM_RSRC2:TRAP_HANDLER: 0
; COMPUTE_PGM_RSRC2:TGID_X_EN: 1
; COMPUTE_PGM_RSRC2:TGID_Y_EN: 0
; COMPUTE_PGM_RSRC2:TGID_Z_EN: 0
; COMPUTE_PGM_RSRC2:TIDIG_COMP_CNT: 0
	.section	.text._Z17wvSplitKQ_hf_sml_I6__halfN3c1013Float8_e4m3fnELi64ELi4ELi16ELi16ELi1ELi3EEviiiPKT0_S5_PT_PKfS9_ii,"axG",@progbits,_Z17wvSplitKQ_hf_sml_I6__halfN3c1013Float8_e4m3fnELi64ELi4ELi16ELi16ELi1ELi3EEviiiPKT0_S5_PT_PKfS9_ii,comdat
	.protected	_Z17wvSplitKQ_hf_sml_I6__halfN3c1013Float8_e4m3fnELi64ELi4ELi16ELi16ELi1ELi3EEviiiPKT0_S5_PT_PKfS9_ii ; -- Begin function _Z17wvSplitKQ_hf_sml_I6__halfN3c1013Float8_e4m3fnELi64ELi4ELi16ELi16ELi1ELi3EEviiiPKT0_S5_PT_PKfS9_ii
	.globl	_Z17wvSplitKQ_hf_sml_I6__halfN3c1013Float8_e4m3fnELi64ELi4ELi16ELi16ELi1ELi3EEviiiPKT0_S5_PT_PKfS9_ii
	.p2align	8
	.type	_Z17wvSplitKQ_hf_sml_I6__halfN3c1013Float8_e4m3fnELi64ELi4ELi16ELi16ELi1ELi3EEviiiPKT0_S5_PT_PKfS9_ii,@function
_Z17wvSplitKQ_hf_sml_I6__halfN3c1013Float8_e4m3fnELi64ELi4ELi16ELi16ELi1ELi3EEviiiPKT0_S5_PT_PKfS9_ii: ; @_Z17wvSplitKQ_hf_sml_I6__halfN3c1013Float8_e4m3fnELi64ELi4ELi16ELi16ELi1ELi3EEviiiPKT0_S5_PT_PKfS9_ii
; %bb.0:
	s_add_u32 s6, s6, s9
	s_mov_b32 s32, 0
	s_addc_u32 s7, s7, 0
	s_setreg_b32 hwreg(HW_REG_FLAT_SCR_LO), s6
	s_setreg_b32 hwreg(HW_REG_FLAT_SCR_HI), s7
	s_add_u32 s0, s0, s9
	s_addc_u32 s1, s1, 0
	s_add_u32 s8, s4, 64
	s_addc_u32 s9, s5, 0
	s_getpc_b64 s[4:5]
	s_add_u32 s4, s4, __PRETTY_FUNCTION__._Z17wvSplitKQ_hf_sml_I6__halfN3c1013Float8_e4m3fnELi64ELi4ELi16ELi16ELi1ELi3EEviiiPKT0_S5_PT_PKfS9_ii@rel32@lo+4
	s_addc_u32 s5, s5, __PRETTY_FUNCTION__._Z17wvSplitKQ_hf_sml_I6__halfN3c1013Float8_e4m3fnELi64ELi4ELi16ELi16ELi1ELi3EEviiiPKT0_S5_PT_PKfS9_ii@rel32@hi+12
	v_mov_b32_e32 v0, 0x5c1
	v_mov_b32_e32 v1, s4
	;; [unrolled: 1-line block ×3, first 2 shown]
	s_getpc_b64 s[6:7]
	s_add_u32 s6, s6, __assert_fail@rel32@lo+4
	s_addc_u32 s7, s7, __assert_fail@rel32@hi+12
	s_swappc_b64 s[30:31], s[6:7]
	.section	.rodata,"a",@progbits
	.p2align	6, 0x0
	.amdhsa_kernel _Z17wvSplitKQ_hf_sml_I6__halfN3c1013Float8_e4m3fnELi64ELi4ELi16ELi16ELi1ELi3EEviiiPKT0_S5_PT_PKfS9_ii
		.amdhsa_group_segment_fixed_size 0
		.amdhsa_private_segment_fixed_size 64
		.amdhsa_kernarg_size 320
		.amdhsa_user_sgpr_count 8
		.amdhsa_user_sgpr_private_segment_buffer 1
		.amdhsa_user_sgpr_dispatch_ptr 0
		.amdhsa_user_sgpr_queue_ptr 0
		.amdhsa_user_sgpr_kernarg_segment_ptr 1
		.amdhsa_user_sgpr_dispatch_id 0
		.amdhsa_user_sgpr_flat_scratch_init 1
		.amdhsa_user_sgpr_private_segment_size 0
		.amdhsa_wavefront_size32 1
		.amdhsa_uses_dynamic_stack 0
		.amdhsa_system_sgpr_private_segment_wavefront_offset 1
		.amdhsa_system_sgpr_workgroup_id_x 1
		.amdhsa_system_sgpr_workgroup_id_y 0
		.amdhsa_system_sgpr_workgroup_id_z 0
		.amdhsa_system_sgpr_workgroup_info 0
		.amdhsa_system_vgpr_workitem_id 0
		.amdhsa_next_free_vgpr 41
		.amdhsa_next_free_sgpr 34
		.amdhsa_reserve_vcc 1
		.amdhsa_reserve_flat_scratch 1
		.amdhsa_float_round_mode_32 0
		.amdhsa_float_round_mode_16_64 0
		.amdhsa_float_denorm_mode_32 3
		.amdhsa_float_denorm_mode_16_64 3
		.amdhsa_dx10_clamp 1
		.amdhsa_ieee_mode 1
		.amdhsa_fp16_overflow 0
		.amdhsa_workgroup_processor_mode 1
		.amdhsa_memory_ordered 1
		.amdhsa_forward_progress 1
		.amdhsa_shared_vgpr_count 0
		.amdhsa_exception_fp_ieee_invalid_op 0
		.amdhsa_exception_fp_denorm_src 0
		.amdhsa_exception_fp_ieee_div_zero 0
		.amdhsa_exception_fp_ieee_overflow 0
		.amdhsa_exception_fp_ieee_underflow 0
		.amdhsa_exception_fp_ieee_inexact 0
		.amdhsa_exception_int_div_zero 0
	.end_amdhsa_kernel
	.section	.text._Z17wvSplitKQ_hf_sml_I6__halfN3c1013Float8_e4m3fnELi64ELi4ELi16ELi16ELi1ELi3EEviiiPKT0_S5_PT_PKfS9_ii,"axG",@progbits,_Z17wvSplitKQ_hf_sml_I6__halfN3c1013Float8_e4m3fnELi64ELi4ELi16ELi16ELi1ELi3EEviiiPKT0_S5_PT_PKfS9_ii,comdat
.Lfunc_end38:
	.size	_Z17wvSplitKQ_hf_sml_I6__halfN3c1013Float8_e4m3fnELi64ELi4ELi16ELi16ELi1ELi3EEviiiPKT0_S5_PT_PKfS9_ii, .Lfunc_end38-_Z17wvSplitKQ_hf_sml_I6__halfN3c1013Float8_e4m3fnELi64ELi4ELi16ELi16ELi1ELi3EEviiiPKT0_S5_PT_PKfS9_ii
                                        ; -- End function
	.set _Z17wvSplitKQ_hf_sml_I6__halfN3c1013Float8_e4m3fnELi64ELi4ELi16ELi16ELi1ELi3EEviiiPKT0_S5_PT_PKfS9_ii.num_vgpr, max(3, .L__assert_fail.num_vgpr)
	.set _Z17wvSplitKQ_hf_sml_I6__halfN3c1013Float8_e4m3fnELi64ELi4ELi16ELi16ELi1ELi3EEviiiPKT0_S5_PT_PKfS9_ii.num_agpr, max(0, .L__assert_fail.num_agpr)
	.set _Z17wvSplitKQ_hf_sml_I6__halfN3c1013Float8_e4m3fnELi64ELi4ELi16ELi16ELi1ELi3EEviiiPKT0_S5_PT_PKfS9_ii.numbered_sgpr, max(33, .L__assert_fail.numbered_sgpr)
	.set _Z17wvSplitKQ_hf_sml_I6__halfN3c1013Float8_e4m3fnELi64ELi4ELi16ELi16ELi1ELi3EEviiiPKT0_S5_PT_PKfS9_ii.num_named_barrier, max(0, .L__assert_fail.num_named_barrier)
	.set _Z17wvSplitKQ_hf_sml_I6__halfN3c1013Float8_e4m3fnELi64ELi4ELi16ELi16ELi1ELi3EEviiiPKT0_S5_PT_PKfS9_ii.private_seg_size, 0+max(.L__assert_fail.private_seg_size)
	.set _Z17wvSplitKQ_hf_sml_I6__halfN3c1013Float8_e4m3fnELi64ELi4ELi16ELi16ELi1ELi3EEviiiPKT0_S5_PT_PKfS9_ii.uses_vcc, or(1, .L__assert_fail.uses_vcc)
	.set _Z17wvSplitKQ_hf_sml_I6__halfN3c1013Float8_e4m3fnELi64ELi4ELi16ELi16ELi1ELi3EEviiiPKT0_S5_PT_PKfS9_ii.uses_flat_scratch, or(1, .L__assert_fail.uses_flat_scratch)
	.set _Z17wvSplitKQ_hf_sml_I6__halfN3c1013Float8_e4m3fnELi64ELi4ELi16ELi16ELi1ELi3EEviiiPKT0_S5_PT_PKfS9_ii.has_dyn_sized_stack, or(0, .L__assert_fail.has_dyn_sized_stack)
	.set _Z17wvSplitKQ_hf_sml_I6__halfN3c1013Float8_e4m3fnELi64ELi4ELi16ELi16ELi1ELi3EEviiiPKT0_S5_PT_PKfS9_ii.has_recursion, or(0, .L__assert_fail.has_recursion)
	.set _Z17wvSplitKQ_hf_sml_I6__halfN3c1013Float8_e4m3fnELi64ELi4ELi16ELi16ELi1ELi3EEviiiPKT0_S5_PT_PKfS9_ii.has_indirect_call, or(0, .L__assert_fail.has_indirect_call)
	.section	.AMDGPU.csdata,"",@progbits
; Kernel info:
; codeLenInByte = 96
; TotalNumSgprs: 36
; NumVgprs: 41
; ScratchSize: 64
; MemoryBound: 0
; FloatMode: 240
; IeeeMode: 1
; LDSByteSize: 0 bytes/workgroup (compile time only)
; SGPRBlocks: 0
; VGPRBlocks: 5
; NumSGPRsForWavesPerEU: 36
; NumVGPRsForWavesPerEU: 41
; Occupancy: 16
; WaveLimiterHint : 1
; COMPUTE_PGM_RSRC2:SCRATCH_EN: 1
; COMPUTE_PGM_RSRC2:USER_SGPR: 8
; COMPUTE_PGM_RSRC2:TRAP_HANDLER: 0
; COMPUTE_PGM_RSRC2:TGID_X_EN: 1
; COMPUTE_PGM_RSRC2:TGID_Y_EN: 0
; COMPUTE_PGM_RSRC2:TGID_Z_EN: 0
; COMPUTE_PGM_RSRC2:TIDIG_COMP_CNT: 0
	.section	.text._Z13wvSplitKQ_hf_I6__halfN3c1013Float8_e4m3fnELi64ELi7ELi16ELi16ELi1ELi3EEviiiPKT0_S5_PT_PKfS9_ii,"axG",@progbits,_Z13wvSplitKQ_hf_I6__halfN3c1013Float8_e4m3fnELi64ELi7ELi16ELi16ELi1ELi3EEviiiPKT0_S5_PT_PKfS9_ii,comdat
	.protected	_Z13wvSplitKQ_hf_I6__halfN3c1013Float8_e4m3fnELi64ELi7ELi16ELi16ELi1ELi3EEviiiPKT0_S5_PT_PKfS9_ii ; -- Begin function _Z13wvSplitKQ_hf_I6__halfN3c1013Float8_e4m3fnELi64ELi7ELi16ELi16ELi1ELi3EEviiiPKT0_S5_PT_PKfS9_ii
	.globl	_Z13wvSplitKQ_hf_I6__halfN3c1013Float8_e4m3fnELi64ELi7ELi16ELi16ELi1ELi3EEviiiPKT0_S5_PT_PKfS9_ii
	.p2align	8
	.type	_Z13wvSplitKQ_hf_I6__halfN3c1013Float8_e4m3fnELi64ELi7ELi16ELi16ELi1ELi3EEviiiPKT0_S5_PT_PKfS9_ii,@function
_Z13wvSplitKQ_hf_I6__halfN3c1013Float8_e4m3fnELi64ELi7ELi16ELi16ELi1ELi3EEviiiPKT0_S5_PT_PKfS9_ii: ; @_Z13wvSplitKQ_hf_I6__halfN3c1013Float8_e4m3fnELi64ELi7ELi16ELi16ELi1ELi3EEviiiPKT0_S5_PT_PKfS9_ii
; %bb.0:
	s_add_u32 s6, s6, s9
	s_mov_b32 s32, 0
	s_addc_u32 s7, s7, 0
	s_setreg_b32 hwreg(HW_REG_FLAT_SCR_LO), s6
	s_setreg_b32 hwreg(HW_REG_FLAT_SCR_HI), s7
	s_add_u32 s0, s0, s9
	s_addc_u32 s1, s1, 0
	s_add_u32 s8, s4, 64
	s_addc_u32 s9, s5, 0
	s_getpc_b64 s[4:5]
	s_add_u32 s4, s4, __PRETTY_FUNCTION__._Z13wvSplitKQ_hf_I6__halfN3c1013Float8_e4m3fnELi64ELi7ELi16ELi16ELi1ELi3EEviiiPKT0_S5_PT_PKfS9_ii@rel32@lo+4
	s_addc_u32 s5, s5, __PRETTY_FUNCTION__._Z13wvSplitKQ_hf_I6__halfN3c1013Float8_e4m3fnELi64ELi7ELi16ELi16ELi1ELi3EEviiiPKT0_S5_PT_PKfS9_ii@rel32@hi+12
	v_mov_b32_e32 v0, 0x66e
	v_mov_b32_e32 v1, s4
	;; [unrolled: 1-line block ×3, first 2 shown]
	s_getpc_b64 s[6:7]
	s_add_u32 s6, s6, __assert_fail@rel32@lo+4
	s_addc_u32 s7, s7, __assert_fail@rel32@hi+12
	s_swappc_b64 s[30:31], s[6:7]
	.section	.rodata,"a",@progbits
	.p2align	6, 0x0
	.amdhsa_kernel _Z13wvSplitKQ_hf_I6__halfN3c1013Float8_e4m3fnELi64ELi7ELi16ELi16ELi1ELi3EEviiiPKT0_S5_PT_PKfS9_ii
		.amdhsa_group_segment_fixed_size 0
		.amdhsa_private_segment_fixed_size 64
		.amdhsa_kernarg_size 320
		.amdhsa_user_sgpr_count 8
		.amdhsa_user_sgpr_private_segment_buffer 1
		.amdhsa_user_sgpr_dispatch_ptr 0
		.amdhsa_user_sgpr_queue_ptr 0
		.amdhsa_user_sgpr_kernarg_segment_ptr 1
		.amdhsa_user_sgpr_dispatch_id 0
		.amdhsa_user_sgpr_flat_scratch_init 1
		.amdhsa_user_sgpr_private_segment_size 0
		.amdhsa_wavefront_size32 1
		.amdhsa_uses_dynamic_stack 0
		.amdhsa_system_sgpr_private_segment_wavefront_offset 1
		.amdhsa_system_sgpr_workgroup_id_x 1
		.amdhsa_system_sgpr_workgroup_id_y 0
		.amdhsa_system_sgpr_workgroup_id_z 0
		.amdhsa_system_sgpr_workgroup_info 0
		.amdhsa_system_vgpr_workitem_id 0
		.amdhsa_next_free_vgpr 41
		.amdhsa_next_free_sgpr 34
		.amdhsa_reserve_vcc 1
		.amdhsa_reserve_flat_scratch 1
		.amdhsa_float_round_mode_32 0
		.amdhsa_float_round_mode_16_64 0
		.amdhsa_float_denorm_mode_32 3
		.amdhsa_float_denorm_mode_16_64 3
		.amdhsa_dx10_clamp 1
		.amdhsa_ieee_mode 1
		.amdhsa_fp16_overflow 0
		.amdhsa_workgroup_processor_mode 1
		.amdhsa_memory_ordered 1
		.amdhsa_forward_progress 1
		.amdhsa_shared_vgpr_count 0
		.amdhsa_exception_fp_ieee_invalid_op 0
		.amdhsa_exception_fp_denorm_src 0
		.amdhsa_exception_fp_ieee_div_zero 0
		.amdhsa_exception_fp_ieee_overflow 0
		.amdhsa_exception_fp_ieee_underflow 0
		.amdhsa_exception_fp_ieee_inexact 0
		.amdhsa_exception_int_div_zero 0
	.end_amdhsa_kernel
	.section	.text._Z13wvSplitKQ_hf_I6__halfN3c1013Float8_e4m3fnELi64ELi7ELi16ELi16ELi1ELi3EEviiiPKT0_S5_PT_PKfS9_ii,"axG",@progbits,_Z13wvSplitKQ_hf_I6__halfN3c1013Float8_e4m3fnELi64ELi7ELi16ELi16ELi1ELi3EEviiiPKT0_S5_PT_PKfS9_ii,comdat
.Lfunc_end39:
	.size	_Z13wvSplitKQ_hf_I6__halfN3c1013Float8_e4m3fnELi64ELi7ELi16ELi16ELi1ELi3EEviiiPKT0_S5_PT_PKfS9_ii, .Lfunc_end39-_Z13wvSplitKQ_hf_I6__halfN3c1013Float8_e4m3fnELi64ELi7ELi16ELi16ELi1ELi3EEviiiPKT0_S5_PT_PKfS9_ii
                                        ; -- End function
	.set _Z13wvSplitKQ_hf_I6__halfN3c1013Float8_e4m3fnELi64ELi7ELi16ELi16ELi1ELi3EEviiiPKT0_S5_PT_PKfS9_ii.num_vgpr, max(3, .L__assert_fail.num_vgpr)
	.set _Z13wvSplitKQ_hf_I6__halfN3c1013Float8_e4m3fnELi64ELi7ELi16ELi16ELi1ELi3EEviiiPKT0_S5_PT_PKfS9_ii.num_agpr, max(0, .L__assert_fail.num_agpr)
	.set _Z13wvSplitKQ_hf_I6__halfN3c1013Float8_e4m3fnELi64ELi7ELi16ELi16ELi1ELi3EEviiiPKT0_S5_PT_PKfS9_ii.numbered_sgpr, max(33, .L__assert_fail.numbered_sgpr)
	.set _Z13wvSplitKQ_hf_I6__halfN3c1013Float8_e4m3fnELi64ELi7ELi16ELi16ELi1ELi3EEviiiPKT0_S5_PT_PKfS9_ii.num_named_barrier, max(0, .L__assert_fail.num_named_barrier)
	.set _Z13wvSplitKQ_hf_I6__halfN3c1013Float8_e4m3fnELi64ELi7ELi16ELi16ELi1ELi3EEviiiPKT0_S5_PT_PKfS9_ii.private_seg_size, 0+max(.L__assert_fail.private_seg_size)
	.set _Z13wvSplitKQ_hf_I6__halfN3c1013Float8_e4m3fnELi64ELi7ELi16ELi16ELi1ELi3EEviiiPKT0_S5_PT_PKfS9_ii.uses_vcc, or(1, .L__assert_fail.uses_vcc)
	.set _Z13wvSplitKQ_hf_I6__halfN3c1013Float8_e4m3fnELi64ELi7ELi16ELi16ELi1ELi3EEviiiPKT0_S5_PT_PKfS9_ii.uses_flat_scratch, or(1, .L__assert_fail.uses_flat_scratch)
	.set _Z13wvSplitKQ_hf_I6__halfN3c1013Float8_e4m3fnELi64ELi7ELi16ELi16ELi1ELi3EEviiiPKT0_S5_PT_PKfS9_ii.has_dyn_sized_stack, or(0, .L__assert_fail.has_dyn_sized_stack)
	.set _Z13wvSplitKQ_hf_I6__halfN3c1013Float8_e4m3fnELi64ELi7ELi16ELi16ELi1ELi3EEviiiPKT0_S5_PT_PKfS9_ii.has_recursion, or(0, .L__assert_fail.has_recursion)
	.set _Z13wvSplitKQ_hf_I6__halfN3c1013Float8_e4m3fnELi64ELi7ELi16ELi16ELi1ELi3EEviiiPKT0_S5_PT_PKfS9_ii.has_indirect_call, or(0, .L__assert_fail.has_indirect_call)
	.section	.AMDGPU.csdata,"",@progbits
; Kernel info:
; codeLenInByte = 96
; TotalNumSgprs: 36
; NumVgprs: 41
; ScratchSize: 64
; MemoryBound: 0
; FloatMode: 240
; IeeeMode: 1
; LDSByteSize: 0 bytes/workgroup (compile time only)
; SGPRBlocks: 0
; VGPRBlocks: 5
; NumSGPRsForWavesPerEU: 36
; NumVGPRsForWavesPerEU: 41
; Occupancy: 16
; WaveLimiterHint : 1
; COMPUTE_PGM_RSRC2:SCRATCH_EN: 1
; COMPUTE_PGM_RSRC2:USER_SGPR: 8
; COMPUTE_PGM_RSRC2:TRAP_HANDLER: 0
; COMPUTE_PGM_RSRC2:TGID_X_EN: 1
; COMPUTE_PGM_RSRC2:TGID_Y_EN: 0
; COMPUTE_PGM_RSRC2:TGID_Z_EN: 0
; COMPUTE_PGM_RSRC2:TIDIG_COMP_CNT: 0
	.section	.text._Z17wvSplitKQ_hf_sml_I6__halfN3c1013Float8_e4m3fnELi64ELi4ELi16ELi16ELi1ELi4EEviiiPKT0_S5_PT_PKfS9_ii,"axG",@progbits,_Z17wvSplitKQ_hf_sml_I6__halfN3c1013Float8_e4m3fnELi64ELi4ELi16ELi16ELi1ELi4EEviiiPKT0_S5_PT_PKfS9_ii,comdat
	.protected	_Z17wvSplitKQ_hf_sml_I6__halfN3c1013Float8_e4m3fnELi64ELi4ELi16ELi16ELi1ELi4EEviiiPKT0_S5_PT_PKfS9_ii ; -- Begin function _Z17wvSplitKQ_hf_sml_I6__halfN3c1013Float8_e4m3fnELi64ELi4ELi16ELi16ELi1ELi4EEviiiPKT0_S5_PT_PKfS9_ii
	.globl	_Z17wvSplitKQ_hf_sml_I6__halfN3c1013Float8_e4m3fnELi64ELi4ELi16ELi16ELi1ELi4EEviiiPKT0_S5_PT_PKfS9_ii
	.p2align	8
	.type	_Z17wvSplitKQ_hf_sml_I6__halfN3c1013Float8_e4m3fnELi64ELi4ELi16ELi16ELi1ELi4EEviiiPKT0_S5_PT_PKfS9_ii,@function
_Z17wvSplitKQ_hf_sml_I6__halfN3c1013Float8_e4m3fnELi64ELi4ELi16ELi16ELi1ELi4EEviiiPKT0_S5_PT_PKfS9_ii: ; @_Z17wvSplitKQ_hf_sml_I6__halfN3c1013Float8_e4m3fnELi64ELi4ELi16ELi16ELi1ELi4EEviiiPKT0_S5_PT_PKfS9_ii
; %bb.0:
	s_add_u32 s6, s6, s9
	s_mov_b32 s32, 0
	s_addc_u32 s7, s7, 0
	s_setreg_b32 hwreg(HW_REG_FLAT_SCR_LO), s6
	s_setreg_b32 hwreg(HW_REG_FLAT_SCR_HI), s7
	s_add_u32 s0, s0, s9
	s_addc_u32 s1, s1, 0
	s_add_u32 s8, s4, 64
	s_addc_u32 s9, s5, 0
	s_getpc_b64 s[4:5]
	s_add_u32 s4, s4, __PRETTY_FUNCTION__._Z17wvSplitKQ_hf_sml_I6__halfN3c1013Float8_e4m3fnELi64ELi4ELi16ELi16ELi1ELi4EEviiiPKT0_S5_PT_PKfS9_ii@rel32@lo+4
	s_addc_u32 s5, s5, __PRETTY_FUNCTION__._Z17wvSplitKQ_hf_sml_I6__halfN3c1013Float8_e4m3fnELi64ELi4ELi16ELi16ELi1ELi4EEviiiPKT0_S5_PT_PKfS9_ii@rel32@hi+12
	v_mov_b32_e32 v0, 0x5c1
	v_mov_b32_e32 v1, s4
	v_mov_b32_e32 v2, s5
	s_getpc_b64 s[6:7]
	s_add_u32 s6, s6, __assert_fail@rel32@lo+4
	s_addc_u32 s7, s7, __assert_fail@rel32@hi+12
	s_swappc_b64 s[30:31], s[6:7]
	.section	.rodata,"a",@progbits
	.p2align	6, 0x0
	.amdhsa_kernel _Z17wvSplitKQ_hf_sml_I6__halfN3c1013Float8_e4m3fnELi64ELi4ELi16ELi16ELi1ELi4EEviiiPKT0_S5_PT_PKfS9_ii
		.amdhsa_group_segment_fixed_size 0
		.amdhsa_private_segment_fixed_size 64
		.amdhsa_kernarg_size 320
		.amdhsa_user_sgpr_count 8
		.amdhsa_user_sgpr_private_segment_buffer 1
		.amdhsa_user_sgpr_dispatch_ptr 0
		.amdhsa_user_sgpr_queue_ptr 0
		.amdhsa_user_sgpr_kernarg_segment_ptr 1
		.amdhsa_user_sgpr_dispatch_id 0
		.amdhsa_user_sgpr_flat_scratch_init 1
		.amdhsa_user_sgpr_private_segment_size 0
		.amdhsa_wavefront_size32 1
		.amdhsa_uses_dynamic_stack 0
		.amdhsa_system_sgpr_private_segment_wavefront_offset 1
		.amdhsa_system_sgpr_workgroup_id_x 1
		.amdhsa_system_sgpr_workgroup_id_y 0
		.amdhsa_system_sgpr_workgroup_id_z 0
		.amdhsa_system_sgpr_workgroup_info 0
		.amdhsa_system_vgpr_workitem_id 0
		.amdhsa_next_free_vgpr 41
		.amdhsa_next_free_sgpr 34
		.amdhsa_reserve_vcc 1
		.amdhsa_reserve_flat_scratch 1
		.amdhsa_float_round_mode_32 0
		.amdhsa_float_round_mode_16_64 0
		.amdhsa_float_denorm_mode_32 3
		.amdhsa_float_denorm_mode_16_64 3
		.amdhsa_dx10_clamp 1
		.amdhsa_ieee_mode 1
		.amdhsa_fp16_overflow 0
		.amdhsa_workgroup_processor_mode 1
		.amdhsa_memory_ordered 1
		.amdhsa_forward_progress 1
		.amdhsa_shared_vgpr_count 0
		.amdhsa_exception_fp_ieee_invalid_op 0
		.amdhsa_exception_fp_denorm_src 0
		.amdhsa_exception_fp_ieee_div_zero 0
		.amdhsa_exception_fp_ieee_overflow 0
		.amdhsa_exception_fp_ieee_underflow 0
		.amdhsa_exception_fp_ieee_inexact 0
		.amdhsa_exception_int_div_zero 0
	.end_amdhsa_kernel
	.section	.text._Z17wvSplitKQ_hf_sml_I6__halfN3c1013Float8_e4m3fnELi64ELi4ELi16ELi16ELi1ELi4EEviiiPKT0_S5_PT_PKfS9_ii,"axG",@progbits,_Z17wvSplitKQ_hf_sml_I6__halfN3c1013Float8_e4m3fnELi64ELi4ELi16ELi16ELi1ELi4EEviiiPKT0_S5_PT_PKfS9_ii,comdat
.Lfunc_end40:
	.size	_Z17wvSplitKQ_hf_sml_I6__halfN3c1013Float8_e4m3fnELi64ELi4ELi16ELi16ELi1ELi4EEviiiPKT0_S5_PT_PKfS9_ii, .Lfunc_end40-_Z17wvSplitKQ_hf_sml_I6__halfN3c1013Float8_e4m3fnELi64ELi4ELi16ELi16ELi1ELi4EEviiiPKT0_S5_PT_PKfS9_ii
                                        ; -- End function
	.set _Z17wvSplitKQ_hf_sml_I6__halfN3c1013Float8_e4m3fnELi64ELi4ELi16ELi16ELi1ELi4EEviiiPKT0_S5_PT_PKfS9_ii.num_vgpr, max(3, .L__assert_fail.num_vgpr)
	.set _Z17wvSplitKQ_hf_sml_I6__halfN3c1013Float8_e4m3fnELi64ELi4ELi16ELi16ELi1ELi4EEviiiPKT0_S5_PT_PKfS9_ii.num_agpr, max(0, .L__assert_fail.num_agpr)
	.set _Z17wvSplitKQ_hf_sml_I6__halfN3c1013Float8_e4m3fnELi64ELi4ELi16ELi16ELi1ELi4EEviiiPKT0_S5_PT_PKfS9_ii.numbered_sgpr, max(33, .L__assert_fail.numbered_sgpr)
	.set _Z17wvSplitKQ_hf_sml_I6__halfN3c1013Float8_e4m3fnELi64ELi4ELi16ELi16ELi1ELi4EEviiiPKT0_S5_PT_PKfS9_ii.num_named_barrier, max(0, .L__assert_fail.num_named_barrier)
	.set _Z17wvSplitKQ_hf_sml_I6__halfN3c1013Float8_e4m3fnELi64ELi4ELi16ELi16ELi1ELi4EEviiiPKT0_S5_PT_PKfS9_ii.private_seg_size, 0+max(.L__assert_fail.private_seg_size)
	.set _Z17wvSplitKQ_hf_sml_I6__halfN3c1013Float8_e4m3fnELi64ELi4ELi16ELi16ELi1ELi4EEviiiPKT0_S5_PT_PKfS9_ii.uses_vcc, or(1, .L__assert_fail.uses_vcc)
	.set _Z17wvSplitKQ_hf_sml_I6__halfN3c1013Float8_e4m3fnELi64ELi4ELi16ELi16ELi1ELi4EEviiiPKT0_S5_PT_PKfS9_ii.uses_flat_scratch, or(1, .L__assert_fail.uses_flat_scratch)
	.set _Z17wvSplitKQ_hf_sml_I6__halfN3c1013Float8_e4m3fnELi64ELi4ELi16ELi16ELi1ELi4EEviiiPKT0_S5_PT_PKfS9_ii.has_dyn_sized_stack, or(0, .L__assert_fail.has_dyn_sized_stack)
	.set _Z17wvSplitKQ_hf_sml_I6__halfN3c1013Float8_e4m3fnELi64ELi4ELi16ELi16ELi1ELi4EEviiiPKT0_S5_PT_PKfS9_ii.has_recursion, or(0, .L__assert_fail.has_recursion)
	.set _Z17wvSplitKQ_hf_sml_I6__halfN3c1013Float8_e4m3fnELi64ELi4ELi16ELi16ELi1ELi4EEviiiPKT0_S5_PT_PKfS9_ii.has_indirect_call, or(0, .L__assert_fail.has_indirect_call)
	.section	.AMDGPU.csdata,"",@progbits
; Kernel info:
; codeLenInByte = 96
; TotalNumSgprs: 36
; NumVgprs: 41
; ScratchSize: 64
; MemoryBound: 0
; FloatMode: 240
; IeeeMode: 1
; LDSByteSize: 0 bytes/workgroup (compile time only)
; SGPRBlocks: 0
; VGPRBlocks: 5
; NumSGPRsForWavesPerEU: 36
; NumVGPRsForWavesPerEU: 41
; Occupancy: 16
; WaveLimiterHint : 1
; COMPUTE_PGM_RSRC2:SCRATCH_EN: 1
; COMPUTE_PGM_RSRC2:USER_SGPR: 8
; COMPUTE_PGM_RSRC2:TRAP_HANDLER: 0
; COMPUTE_PGM_RSRC2:TGID_X_EN: 1
; COMPUTE_PGM_RSRC2:TGID_Y_EN: 0
; COMPUTE_PGM_RSRC2:TGID_Z_EN: 0
; COMPUTE_PGM_RSRC2:TIDIG_COMP_CNT: 0
	.section	.text._Z13wvSplitKQ_hf_I6__halfN3c1013Float8_e4m3fnELi64ELi7ELi16ELi16ELi1ELi4EEviiiPKT0_S5_PT_PKfS9_ii,"axG",@progbits,_Z13wvSplitKQ_hf_I6__halfN3c1013Float8_e4m3fnELi64ELi7ELi16ELi16ELi1ELi4EEviiiPKT0_S5_PT_PKfS9_ii,comdat
	.protected	_Z13wvSplitKQ_hf_I6__halfN3c1013Float8_e4m3fnELi64ELi7ELi16ELi16ELi1ELi4EEviiiPKT0_S5_PT_PKfS9_ii ; -- Begin function _Z13wvSplitKQ_hf_I6__halfN3c1013Float8_e4m3fnELi64ELi7ELi16ELi16ELi1ELi4EEviiiPKT0_S5_PT_PKfS9_ii
	.globl	_Z13wvSplitKQ_hf_I6__halfN3c1013Float8_e4m3fnELi64ELi7ELi16ELi16ELi1ELi4EEviiiPKT0_S5_PT_PKfS9_ii
	.p2align	8
	.type	_Z13wvSplitKQ_hf_I6__halfN3c1013Float8_e4m3fnELi64ELi7ELi16ELi16ELi1ELi4EEviiiPKT0_S5_PT_PKfS9_ii,@function
_Z13wvSplitKQ_hf_I6__halfN3c1013Float8_e4m3fnELi64ELi7ELi16ELi16ELi1ELi4EEviiiPKT0_S5_PT_PKfS9_ii: ; @_Z13wvSplitKQ_hf_I6__halfN3c1013Float8_e4m3fnELi64ELi7ELi16ELi16ELi1ELi4EEviiiPKT0_S5_PT_PKfS9_ii
; %bb.0:
	s_add_u32 s6, s6, s9
	s_mov_b32 s32, 0
	s_addc_u32 s7, s7, 0
	s_setreg_b32 hwreg(HW_REG_FLAT_SCR_LO), s6
	s_setreg_b32 hwreg(HW_REG_FLAT_SCR_HI), s7
	s_add_u32 s0, s0, s9
	s_addc_u32 s1, s1, 0
	s_add_u32 s8, s4, 64
	s_addc_u32 s9, s5, 0
	s_getpc_b64 s[4:5]
	s_add_u32 s4, s4, __PRETTY_FUNCTION__._Z13wvSplitKQ_hf_I6__halfN3c1013Float8_e4m3fnELi64ELi7ELi16ELi16ELi1ELi4EEviiiPKT0_S5_PT_PKfS9_ii@rel32@lo+4
	s_addc_u32 s5, s5, __PRETTY_FUNCTION__._Z13wvSplitKQ_hf_I6__halfN3c1013Float8_e4m3fnELi64ELi7ELi16ELi16ELi1ELi4EEviiiPKT0_S5_PT_PKfS9_ii@rel32@hi+12
	v_mov_b32_e32 v0, 0x66e
	v_mov_b32_e32 v1, s4
	;; [unrolled: 1-line block ×3, first 2 shown]
	s_getpc_b64 s[6:7]
	s_add_u32 s6, s6, __assert_fail@rel32@lo+4
	s_addc_u32 s7, s7, __assert_fail@rel32@hi+12
	s_swappc_b64 s[30:31], s[6:7]
	.section	.rodata,"a",@progbits
	.p2align	6, 0x0
	.amdhsa_kernel _Z13wvSplitKQ_hf_I6__halfN3c1013Float8_e4m3fnELi64ELi7ELi16ELi16ELi1ELi4EEviiiPKT0_S5_PT_PKfS9_ii
		.amdhsa_group_segment_fixed_size 0
		.amdhsa_private_segment_fixed_size 64
		.amdhsa_kernarg_size 320
		.amdhsa_user_sgpr_count 8
		.amdhsa_user_sgpr_private_segment_buffer 1
		.amdhsa_user_sgpr_dispatch_ptr 0
		.amdhsa_user_sgpr_queue_ptr 0
		.amdhsa_user_sgpr_kernarg_segment_ptr 1
		.amdhsa_user_sgpr_dispatch_id 0
		.amdhsa_user_sgpr_flat_scratch_init 1
		.amdhsa_user_sgpr_private_segment_size 0
		.amdhsa_wavefront_size32 1
		.amdhsa_uses_dynamic_stack 0
		.amdhsa_system_sgpr_private_segment_wavefront_offset 1
		.amdhsa_system_sgpr_workgroup_id_x 1
		.amdhsa_system_sgpr_workgroup_id_y 0
		.amdhsa_system_sgpr_workgroup_id_z 0
		.amdhsa_system_sgpr_workgroup_info 0
		.amdhsa_system_vgpr_workitem_id 0
		.amdhsa_next_free_vgpr 41
		.amdhsa_next_free_sgpr 34
		.amdhsa_reserve_vcc 1
		.amdhsa_reserve_flat_scratch 1
		.amdhsa_float_round_mode_32 0
		.amdhsa_float_round_mode_16_64 0
		.amdhsa_float_denorm_mode_32 3
		.amdhsa_float_denorm_mode_16_64 3
		.amdhsa_dx10_clamp 1
		.amdhsa_ieee_mode 1
		.amdhsa_fp16_overflow 0
		.amdhsa_workgroup_processor_mode 1
		.amdhsa_memory_ordered 1
		.amdhsa_forward_progress 1
		.amdhsa_shared_vgpr_count 0
		.amdhsa_exception_fp_ieee_invalid_op 0
		.amdhsa_exception_fp_denorm_src 0
		.amdhsa_exception_fp_ieee_div_zero 0
		.amdhsa_exception_fp_ieee_overflow 0
		.amdhsa_exception_fp_ieee_underflow 0
		.amdhsa_exception_fp_ieee_inexact 0
		.amdhsa_exception_int_div_zero 0
	.end_amdhsa_kernel
	.section	.text._Z13wvSplitKQ_hf_I6__halfN3c1013Float8_e4m3fnELi64ELi7ELi16ELi16ELi1ELi4EEviiiPKT0_S5_PT_PKfS9_ii,"axG",@progbits,_Z13wvSplitKQ_hf_I6__halfN3c1013Float8_e4m3fnELi64ELi7ELi16ELi16ELi1ELi4EEviiiPKT0_S5_PT_PKfS9_ii,comdat
.Lfunc_end41:
	.size	_Z13wvSplitKQ_hf_I6__halfN3c1013Float8_e4m3fnELi64ELi7ELi16ELi16ELi1ELi4EEviiiPKT0_S5_PT_PKfS9_ii, .Lfunc_end41-_Z13wvSplitKQ_hf_I6__halfN3c1013Float8_e4m3fnELi64ELi7ELi16ELi16ELi1ELi4EEviiiPKT0_S5_PT_PKfS9_ii
                                        ; -- End function
	.set _Z13wvSplitKQ_hf_I6__halfN3c1013Float8_e4m3fnELi64ELi7ELi16ELi16ELi1ELi4EEviiiPKT0_S5_PT_PKfS9_ii.num_vgpr, max(3, .L__assert_fail.num_vgpr)
	.set _Z13wvSplitKQ_hf_I6__halfN3c1013Float8_e4m3fnELi64ELi7ELi16ELi16ELi1ELi4EEviiiPKT0_S5_PT_PKfS9_ii.num_agpr, max(0, .L__assert_fail.num_agpr)
	.set _Z13wvSplitKQ_hf_I6__halfN3c1013Float8_e4m3fnELi64ELi7ELi16ELi16ELi1ELi4EEviiiPKT0_S5_PT_PKfS9_ii.numbered_sgpr, max(33, .L__assert_fail.numbered_sgpr)
	.set _Z13wvSplitKQ_hf_I6__halfN3c1013Float8_e4m3fnELi64ELi7ELi16ELi16ELi1ELi4EEviiiPKT0_S5_PT_PKfS9_ii.num_named_barrier, max(0, .L__assert_fail.num_named_barrier)
	.set _Z13wvSplitKQ_hf_I6__halfN3c1013Float8_e4m3fnELi64ELi7ELi16ELi16ELi1ELi4EEviiiPKT0_S5_PT_PKfS9_ii.private_seg_size, 0+max(.L__assert_fail.private_seg_size)
	.set _Z13wvSplitKQ_hf_I6__halfN3c1013Float8_e4m3fnELi64ELi7ELi16ELi16ELi1ELi4EEviiiPKT0_S5_PT_PKfS9_ii.uses_vcc, or(1, .L__assert_fail.uses_vcc)
	.set _Z13wvSplitKQ_hf_I6__halfN3c1013Float8_e4m3fnELi64ELi7ELi16ELi16ELi1ELi4EEviiiPKT0_S5_PT_PKfS9_ii.uses_flat_scratch, or(1, .L__assert_fail.uses_flat_scratch)
	.set _Z13wvSplitKQ_hf_I6__halfN3c1013Float8_e4m3fnELi64ELi7ELi16ELi16ELi1ELi4EEviiiPKT0_S5_PT_PKfS9_ii.has_dyn_sized_stack, or(0, .L__assert_fail.has_dyn_sized_stack)
	.set _Z13wvSplitKQ_hf_I6__halfN3c1013Float8_e4m3fnELi64ELi7ELi16ELi16ELi1ELi4EEviiiPKT0_S5_PT_PKfS9_ii.has_recursion, or(0, .L__assert_fail.has_recursion)
	.set _Z13wvSplitKQ_hf_I6__halfN3c1013Float8_e4m3fnELi64ELi7ELi16ELi16ELi1ELi4EEviiiPKT0_S5_PT_PKfS9_ii.has_indirect_call, or(0, .L__assert_fail.has_indirect_call)
	.section	.AMDGPU.csdata,"",@progbits
; Kernel info:
; codeLenInByte = 96
; TotalNumSgprs: 36
; NumVgprs: 41
; ScratchSize: 64
; MemoryBound: 0
; FloatMode: 240
; IeeeMode: 1
; LDSByteSize: 0 bytes/workgroup (compile time only)
; SGPRBlocks: 0
; VGPRBlocks: 5
; NumSGPRsForWavesPerEU: 36
; NumVGPRsForWavesPerEU: 41
; Occupancy: 16
; WaveLimiterHint : 1
; COMPUTE_PGM_RSRC2:SCRATCH_EN: 1
; COMPUTE_PGM_RSRC2:USER_SGPR: 8
; COMPUTE_PGM_RSRC2:TRAP_HANDLER: 0
; COMPUTE_PGM_RSRC2:TGID_X_EN: 1
; COMPUTE_PGM_RSRC2:TGID_Y_EN: 0
; COMPUTE_PGM_RSRC2:TGID_Z_EN: 0
; COMPUTE_PGM_RSRC2:TIDIG_COMP_CNT: 0
	.section	.text._Z17wvSplitKQ_hf_sml_I6__halfN3c1015Float8_e4m3fnuzELi64ELi2ELi16ELi16ELi2ELi1EEviiiPKT0_S5_PT_PKfS9_ii,"axG",@progbits,_Z17wvSplitKQ_hf_sml_I6__halfN3c1015Float8_e4m3fnuzELi64ELi2ELi16ELi16ELi2ELi1EEviiiPKT0_S5_PT_PKfS9_ii,comdat
	.protected	_Z17wvSplitKQ_hf_sml_I6__halfN3c1015Float8_e4m3fnuzELi64ELi2ELi16ELi16ELi2ELi1EEviiiPKT0_S5_PT_PKfS9_ii ; -- Begin function _Z17wvSplitKQ_hf_sml_I6__halfN3c1015Float8_e4m3fnuzELi64ELi2ELi16ELi16ELi2ELi1EEviiiPKT0_S5_PT_PKfS9_ii
	.globl	_Z17wvSplitKQ_hf_sml_I6__halfN3c1015Float8_e4m3fnuzELi64ELi2ELi16ELi16ELi2ELi1EEviiiPKT0_S5_PT_PKfS9_ii
	.p2align	8
	.type	_Z17wvSplitKQ_hf_sml_I6__halfN3c1015Float8_e4m3fnuzELi64ELi2ELi16ELi16ELi2ELi1EEviiiPKT0_S5_PT_PKfS9_ii,@function
_Z17wvSplitKQ_hf_sml_I6__halfN3c1015Float8_e4m3fnuzELi64ELi2ELi16ELi16ELi2ELi1EEviiiPKT0_S5_PT_PKfS9_ii: ; @_Z17wvSplitKQ_hf_sml_I6__halfN3c1015Float8_e4m3fnuzELi64ELi2ELi16ELi16ELi2ELi1EEviiiPKT0_S5_PT_PKfS9_ii
; %bb.0:
	s_add_u32 s6, s6, s9
	s_mov_b32 s32, 0
	s_addc_u32 s7, s7, 0
	s_setreg_b32 hwreg(HW_REG_FLAT_SCR_LO), s6
	s_setreg_b32 hwreg(HW_REG_FLAT_SCR_HI), s7
	s_add_u32 s0, s0, s9
	s_addc_u32 s1, s1, 0
	s_add_u32 s8, s4, 64
	s_addc_u32 s9, s5, 0
	s_getpc_b64 s[4:5]
	s_add_u32 s4, s4, __PRETTY_FUNCTION__._Z17wvSplitKQ_hf_sml_I6__halfN3c1015Float8_e4m3fnuzELi64ELi2ELi16ELi16ELi2ELi1EEviiiPKT0_S5_PT_PKfS9_ii@rel32@lo+4
	s_addc_u32 s5, s5, __PRETTY_FUNCTION__._Z17wvSplitKQ_hf_sml_I6__halfN3c1015Float8_e4m3fnuzELi64ELi2ELi16ELi16ELi2ELi1EEviiiPKT0_S5_PT_PKfS9_ii@rel32@hi+12
	v_mov_b32_e32 v0, 0x5c1
	v_mov_b32_e32 v1, s4
	;; [unrolled: 1-line block ×3, first 2 shown]
	s_getpc_b64 s[6:7]
	s_add_u32 s6, s6, __assert_fail@rel32@lo+4
	s_addc_u32 s7, s7, __assert_fail@rel32@hi+12
	s_swappc_b64 s[30:31], s[6:7]
	.section	.rodata,"a",@progbits
	.p2align	6, 0x0
	.amdhsa_kernel _Z17wvSplitKQ_hf_sml_I6__halfN3c1015Float8_e4m3fnuzELi64ELi2ELi16ELi16ELi2ELi1EEviiiPKT0_S5_PT_PKfS9_ii
		.amdhsa_group_segment_fixed_size 0
		.amdhsa_private_segment_fixed_size 64
		.amdhsa_kernarg_size 320
		.amdhsa_user_sgpr_count 8
		.amdhsa_user_sgpr_private_segment_buffer 1
		.amdhsa_user_sgpr_dispatch_ptr 0
		.amdhsa_user_sgpr_queue_ptr 0
		.amdhsa_user_sgpr_kernarg_segment_ptr 1
		.amdhsa_user_sgpr_dispatch_id 0
		.amdhsa_user_sgpr_flat_scratch_init 1
		.amdhsa_user_sgpr_private_segment_size 0
		.amdhsa_wavefront_size32 1
		.amdhsa_uses_dynamic_stack 0
		.amdhsa_system_sgpr_private_segment_wavefront_offset 1
		.amdhsa_system_sgpr_workgroup_id_x 1
		.amdhsa_system_sgpr_workgroup_id_y 0
		.amdhsa_system_sgpr_workgroup_id_z 0
		.amdhsa_system_sgpr_workgroup_info 0
		.amdhsa_system_vgpr_workitem_id 0
		.amdhsa_next_free_vgpr 41
		.amdhsa_next_free_sgpr 34
		.amdhsa_reserve_vcc 1
		.amdhsa_reserve_flat_scratch 1
		.amdhsa_float_round_mode_32 0
		.amdhsa_float_round_mode_16_64 0
		.amdhsa_float_denorm_mode_32 3
		.amdhsa_float_denorm_mode_16_64 3
		.amdhsa_dx10_clamp 1
		.amdhsa_ieee_mode 1
		.amdhsa_fp16_overflow 0
		.amdhsa_workgroup_processor_mode 1
		.amdhsa_memory_ordered 1
		.amdhsa_forward_progress 1
		.amdhsa_shared_vgpr_count 0
		.amdhsa_exception_fp_ieee_invalid_op 0
		.amdhsa_exception_fp_denorm_src 0
		.amdhsa_exception_fp_ieee_div_zero 0
		.amdhsa_exception_fp_ieee_overflow 0
		.amdhsa_exception_fp_ieee_underflow 0
		.amdhsa_exception_fp_ieee_inexact 0
		.amdhsa_exception_int_div_zero 0
	.end_amdhsa_kernel
	.section	.text._Z17wvSplitKQ_hf_sml_I6__halfN3c1015Float8_e4m3fnuzELi64ELi2ELi16ELi16ELi2ELi1EEviiiPKT0_S5_PT_PKfS9_ii,"axG",@progbits,_Z17wvSplitKQ_hf_sml_I6__halfN3c1015Float8_e4m3fnuzELi64ELi2ELi16ELi16ELi2ELi1EEviiiPKT0_S5_PT_PKfS9_ii,comdat
.Lfunc_end42:
	.size	_Z17wvSplitKQ_hf_sml_I6__halfN3c1015Float8_e4m3fnuzELi64ELi2ELi16ELi16ELi2ELi1EEviiiPKT0_S5_PT_PKfS9_ii, .Lfunc_end42-_Z17wvSplitKQ_hf_sml_I6__halfN3c1015Float8_e4m3fnuzELi64ELi2ELi16ELi16ELi2ELi1EEviiiPKT0_S5_PT_PKfS9_ii
                                        ; -- End function
	.set _Z17wvSplitKQ_hf_sml_I6__halfN3c1015Float8_e4m3fnuzELi64ELi2ELi16ELi16ELi2ELi1EEviiiPKT0_S5_PT_PKfS9_ii.num_vgpr, max(3, .L__assert_fail.num_vgpr)
	.set _Z17wvSplitKQ_hf_sml_I6__halfN3c1015Float8_e4m3fnuzELi64ELi2ELi16ELi16ELi2ELi1EEviiiPKT0_S5_PT_PKfS9_ii.num_agpr, max(0, .L__assert_fail.num_agpr)
	.set _Z17wvSplitKQ_hf_sml_I6__halfN3c1015Float8_e4m3fnuzELi64ELi2ELi16ELi16ELi2ELi1EEviiiPKT0_S5_PT_PKfS9_ii.numbered_sgpr, max(33, .L__assert_fail.numbered_sgpr)
	.set _Z17wvSplitKQ_hf_sml_I6__halfN3c1015Float8_e4m3fnuzELi64ELi2ELi16ELi16ELi2ELi1EEviiiPKT0_S5_PT_PKfS9_ii.num_named_barrier, max(0, .L__assert_fail.num_named_barrier)
	.set _Z17wvSplitKQ_hf_sml_I6__halfN3c1015Float8_e4m3fnuzELi64ELi2ELi16ELi16ELi2ELi1EEviiiPKT0_S5_PT_PKfS9_ii.private_seg_size, 0+max(.L__assert_fail.private_seg_size)
	.set _Z17wvSplitKQ_hf_sml_I6__halfN3c1015Float8_e4m3fnuzELi64ELi2ELi16ELi16ELi2ELi1EEviiiPKT0_S5_PT_PKfS9_ii.uses_vcc, or(1, .L__assert_fail.uses_vcc)
	.set _Z17wvSplitKQ_hf_sml_I6__halfN3c1015Float8_e4m3fnuzELi64ELi2ELi16ELi16ELi2ELi1EEviiiPKT0_S5_PT_PKfS9_ii.uses_flat_scratch, or(1, .L__assert_fail.uses_flat_scratch)
	.set _Z17wvSplitKQ_hf_sml_I6__halfN3c1015Float8_e4m3fnuzELi64ELi2ELi16ELi16ELi2ELi1EEviiiPKT0_S5_PT_PKfS9_ii.has_dyn_sized_stack, or(0, .L__assert_fail.has_dyn_sized_stack)
	.set _Z17wvSplitKQ_hf_sml_I6__halfN3c1015Float8_e4m3fnuzELi64ELi2ELi16ELi16ELi2ELi1EEviiiPKT0_S5_PT_PKfS9_ii.has_recursion, or(0, .L__assert_fail.has_recursion)
	.set _Z17wvSplitKQ_hf_sml_I6__halfN3c1015Float8_e4m3fnuzELi64ELi2ELi16ELi16ELi2ELi1EEviiiPKT0_S5_PT_PKfS9_ii.has_indirect_call, or(0, .L__assert_fail.has_indirect_call)
	.section	.AMDGPU.csdata,"",@progbits
; Kernel info:
; codeLenInByte = 96
; TotalNumSgprs: 36
; NumVgprs: 41
; ScratchSize: 64
; MemoryBound: 0
; FloatMode: 240
; IeeeMode: 1
; LDSByteSize: 0 bytes/workgroup (compile time only)
; SGPRBlocks: 0
; VGPRBlocks: 5
; NumSGPRsForWavesPerEU: 36
; NumVGPRsForWavesPerEU: 41
; Occupancy: 16
; WaveLimiterHint : 1
; COMPUTE_PGM_RSRC2:SCRATCH_EN: 1
; COMPUTE_PGM_RSRC2:USER_SGPR: 8
; COMPUTE_PGM_RSRC2:TRAP_HANDLER: 0
; COMPUTE_PGM_RSRC2:TGID_X_EN: 1
; COMPUTE_PGM_RSRC2:TGID_Y_EN: 0
; COMPUTE_PGM_RSRC2:TGID_Z_EN: 0
; COMPUTE_PGM_RSRC2:TIDIG_COMP_CNT: 0
	.section	.text._Z13wvSplitKQ_hf_I6__halfN3c1015Float8_e4m3fnuzELi64ELi2ELi16ELi16ELi2ELi1EEviiiPKT0_S5_PT_PKfS9_ii,"axG",@progbits,_Z13wvSplitKQ_hf_I6__halfN3c1015Float8_e4m3fnuzELi64ELi2ELi16ELi16ELi2ELi1EEviiiPKT0_S5_PT_PKfS9_ii,comdat
	.protected	_Z13wvSplitKQ_hf_I6__halfN3c1015Float8_e4m3fnuzELi64ELi2ELi16ELi16ELi2ELi1EEviiiPKT0_S5_PT_PKfS9_ii ; -- Begin function _Z13wvSplitKQ_hf_I6__halfN3c1015Float8_e4m3fnuzELi64ELi2ELi16ELi16ELi2ELi1EEviiiPKT0_S5_PT_PKfS9_ii
	.globl	_Z13wvSplitKQ_hf_I6__halfN3c1015Float8_e4m3fnuzELi64ELi2ELi16ELi16ELi2ELi1EEviiiPKT0_S5_PT_PKfS9_ii
	.p2align	8
	.type	_Z13wvSplitKQ_hf_I6__halfN3c1015Float8_e4m3fnuzELi64ELi2ELi16ELi16ELi2ELi1EEviiiPKT0_S5_PT_PKfS9_ii,@function
_Z13wvSplitKQ_hf_I6__halfN3c1015Float8_e4m3fnuzELi64ELi2ELi16ELi16ELi2ELi1EEviiiPKT0_S5_PT_PKfS9_ii: ; @_Z13wvSplitKQ_hf_I6__halfN3c1015Float8_e4m3fnuzELi64ELi2ELi16ELi16ELi2ELi1EEviiiPKT0_S5_PT_PKfS9_ii
; %bb.0:
	s_add_u32 s6, s6, s9
	s_mov_b32 s32, 0
	s_addc_u32 s7, s7, 0
	s_setreg_b32 hwreg(HW_REG_FLAT_SCR_LO), s6
	s_setreg_b32 hwreg(HW_REG_FLAT_SCR_HI), s7
	s_add_u32 s0, s0, s9
	s_addc_u32 s1, s1, 0
	s_add_u32 s8, s4, 64
	s_addc_u32 s9, s5, 0
	s_getpc_b64 s[4:5]
	s_add_u32 s4, s4, __PRETTY_FUNCTION__._Z13wvSplitKQ_hf_I6__halfN3c1015Float8_e4m3fnuzELi64ELi2ELi16ELi16ELi2ELi1EEviiiPKT0_S5_PT_PKfS9_ii@rel32@lo+4
	s_addc_u32 s5, s5, __PRETTY_FUNCTION__._Z13wvSplitKQ_hf_I6__halfN3c1015Float8_e4m3fnuzELi64ELi2ELi16ELi16ELi2ELi1EEviiiPKT0_S5_PT_PKfS9_ii@rel32@hi+12
	v_mov_b32_e32 v0, 0x66e
	v_mov_b32_e32 v1, s4
	;; [unrolled: 1-line block ×3, first 2 shown]
	s_getpc_b64 s[6:7]
	s_add_u32 s6, s6, __assert_fail@rel32@lo+4
	s_addc_u32 s7, s7, __assert_fail@rel32@hi+12
	s_swappc_b64 s[30:31], s[6:7]
	.section	.rodata,"a",@progbits
	.p2align	6, 0x0
	.amdhsa_kernel _Z13wvSplitKQ_hf_I6__halfN3c1015Float8_e4m3fnuzELi64ELi2ELi16ELi16ELi2ELi1EEviiiPKT0_S5_PT_PKfS9_ii
		.amdhsa_group_segment_fixed_size 0
		.amdhsa_private_segment_fixed_size 64
		.amdhsa_kernarg_size 320
		.amdhsa_user_sgpr_count 8
		.amdhsa_user_sgpr_private_segment_buffer 1
		.amdhsa_user_sgpr_dispatch_ptr 0
		.amdhsa_user_sgpr_queue_ptr 0
		.amdhsa_user_sgpr_kernarg_segment_ptr 1
		.amdhsa_user_sgpr_dispatch_id 0
		.amdhsa_user_sgpr_flat_scratch_init 1
		.amdhsa_user_sgpr_private_segment_size 0
		.amdhsa_wavefront_size32 1
		.amdhsa_uses_dynamic_stack 0
		.amdhsa_system_sgpr_private_segment_wavefront_offset 1
		.amdhsa_system_sgpr_workgroup_id_x 1
		.amdhsa_system_sgpr_workgroup_id_y 0
		.amdhsa_system_sgpr_workgroup_id_z 0
		.amdhsa_system_sgpr_workgroup_info 0
		.amdhsa_system_vgpr_workitem_id 0
		.amdhsa_next_free_vgpr 41
		.amdhsa_next_free_sgpr 34
		.amdhsa_reserve_vcc 1
		.amdhsa_reserve_flat_scratch 1
		.amdhsa_float_round_mode_32 0
		.amdhsa_float_round_mode_16_64 0
		.amdhsa_float_denorm_mode_32 3
		.amdhsa_float_denorm_mode_16_64 3
		.amdhsa_dx10_clamp 1
		.amdhsa_ieee_mode 1
		.amdhsa_fp16_overflow 0
		.amdhsa_workgroup_processor_mode 1
		.amdhsa_memory_ordered 1
		.amdhsa_forward_progress 1
		.amdhsa_shared_vgpr_count 0
		.amdhsa_exception_fp_ieee_invalid_op 0
		.amdhsa_exception_fp_denorm_src 0
		.amdhsa_exception_fp_ieee_div_zero 0
		.amdhsa_exception_fp_ieee_overflow 0
		.amdhsa_exception_fp_ieee_underflow 0
		.amdhsa_exception_fp_ieee_inexact 0
		.amdhsa_exception_int_div_zero 0
	.end_amdhsa_kernel
	.section	.text._Z13wvSplitKQ_hf_I6__halfN3c1015Float8_e4m3fnuzELi64ELi2ELi16ELi16ELi2ELi1EEviiiPKT0_S5_PT_PKfS9_ii,"axG",@progbits,_Z13wvSplitKQ_hf_I6__halfN3c1015Float8_e4m3fnuzELi64ELi2ELi16ELi16ELi2ELi1EEviiiPKT0_S5_PT_PKfS9_ii,comdat
.Lfunc_end43:
	.size	_Z13wvSplitKQ_hf_I6__halfN3c1015Float8_e4m3fnuzELi64ELi2ELi16ELi16ELi2ELi1EEviiiPKT0_S5_PT_PKfS9_ii, .Lfunc_end43-_Z13wvSplitKQ_hf_I6__halfN3c1015Float8_e4m3fnuzELi64ELi2ELi16ELi16ELi2ELi1EEviiiPKT0_S5_PT_PKfS9_ii
                                        ; -- End function
	.set _Z13wvSplitKQ_hf_I6__halfN3c1015Float8_e4m3fnuzELi64ELi2ELi16ELi16ELi2ELi1EEviiiPKT0_S5_PT_PKfS9_ii.num_vgpr, max(3, .L__assert_fail.num_vgpr)
	.set _Z13wvSplitKQ_hf_I6__halfN3c1015Float8_e4m3fnuzELi64ELi2ELi16ELi16ELi2ELi1EEviiiPKT0_S5_PT_PKfS9_ii.num_agpr, max(0, .L__assert_fail.num_agpr)
	.set _Z13wvSplitKQ_hf_I6__halfN3c1015Float8_e4m3fnuzELi64ELi2ELi16ELi16ELi2ELi1EEviiiPKT0_S5_PT_PKfS9_ii.numbered_sgpr, max(33, .L__assert_fail.numbered_sgpr)
	.set _Z13wvSplitKQ_hf_I6__halfN3c1015Float8_e4m3fnuzELi64ELi2ELi16ELi16ELi2ELi1EEviiiPKT0_S5_PT_PKfS9_ii.num_named_barrier, max(0, .L__assert_fail.num_named_barrier)
	.set _Z13wvSplitKQ_hf_I6__halfN3c1015Float8_e4m3fnuzELi64ELi2ELi16ELi16ELi2ELi1EEviiiPKT0_S5_PT_PKfS9_ii.private_seg_size, 0+max(.L__assert_fail.private_seg_size)
	.set _Z13wvSplitKQ_hf_I6__halfN3c1015Float8_e4m3fnuzELi64ELi2ELi16ELi16ELi2ELi1EEviiiPKT0_S5_PT_PKfS9_ii.uses_vcc, or(1, .L__assert_fail.uses_vcc)
	.set _Z13wvSplitKQ_hf_I6__halfN3c1015Float8_e4m3fnuzELi64ELi2ELi16ELi16ELi2ELi1EEviiiPKT0_S5_PT_PKfS9_ii.uses_flat_scratch, or(1, .L__assert_fail.uses_flat_scratch)
	.set _Z13wvSplitKQ_hf_I6__halfN3c1015Float8_e4m3fnuzELi64ELi2ELi16ELi16ELi2ELi1EEviiiPKT0_S5_PT_PKfS9_ii.has_dyn_sized_stack, or(0, .L__assert_fail.has_dyn_sized_stack)
	.set _Z13wvSplitKQ_hf_I6__halfN3c1015Float8_e4m3fnuzELi64ELi2ELi16ELi16ELi2ELi1EEviiiPKT0_S5_PT_PKfS9_ii.has_recursion, or(0, .L__assert_fail.has_recursion)
	.set _Z13wvSplitKQ_hf_I6__halfN3c1015Float8_e4m3fnuzELi64ELi2ELi16ELi16ELi2ELi1EEviiiPKT0_S5_PT_PKfS9_ii.has_indirect_call, or(0, .L__assert_fail.has_indirect_call)
	.section	.AMDGPU.csdata,"",@progbits
; Kernel info:
; codeLenInByte = 96
; TotalNumSgprs: 36
; NumVgprs: 41
; ScratchSize: 64
; MemoryBound: 0
; FloatMode: 240
; IeeeMode: 1
; LDSByteSize: 0 bytes/workgroup (compile time only)
; SGPRBlocks: 0
; VGPRBlocks: 5
; NumSGPRsForWavesPerEU: 36
; NumVGPRsForWavesPerEU: 41
; Occupancy: 16
; WaveLimiterHint : 1
; COMPUTE_PGM_RSRC2:SCRATCH_EN: 1
; COMPUTE_PGM_RSRC2:USER_SGPR: 8
; COMPUTE_PGM_RSRC2:TRAP_HANDLER: 0
; COMPUTE_PGM_RSRC2:TGID_X_EN: 1
; COMPUTE_PGM_RSRC2:TGID_Y_EN: 0
; COMPUTE_PGM_RSRC2:TGID_Z_EN: 0
; COMPUTE_PGM_RSRC2:TIDIG_COMP_CNT: 0
	.section	.text._Z17wvSplitKQ_hf_sml_I6__halfN3c1015Float8_e4m3fnuzELi64ELi2ELi16ELi16ELi2ELi2EEviiiPKT0_S5_PT_PKfS9_ii,"axG",@progbits,_Z17wvSplitKQ_hf_sml_I6__halfN3c1015Float8_e4m3fnuzELi64ELi2ELi16ELi16ELi2ELi2EEviiiPKT0_S5_PT_PKfS9_ii,comdat
	.protected	_Z17wvSplitKQ_hf_sml_I6__halfN3c1015Float8_e4m3fnuzELi64ELi2ELi16ELi16ELi2ELi2EEviiiPKT0_S5_PT_PKfS9_ii ; -- Begin function _Z17wvSplitKQ_hf_sml_I6__halfN3c1015Float8_e4m3fnuzELi64ELi2ELi16ELi16ELi2ELi2EEviiiPKT0_S5_PT_PKfS9_ii
	.globl	_Z17wvSplitKQ_hf_sml_I6__halfN3c1015Float8_e4m3fnuzELi64ELi2ELi16ELi16ELi2ELi2EEviiiPKT0_S5_PT_PKfS9_ii
	.p2align	8
	.type	_Z17wvSplitKQ_hf_sml_I6__halfN3c1015Float8_e4m3fnuzELi64ELi2ELi16ELi16ELi2ELi2EEviiiPKT0_S5_PT_PKfS9_ii,@function
_Z17wvSplitKQ_hf_sml_I6__halfN3c1015Float8_e4m3fnuzELi64ELi2ELi16ELi16ELi2ELi2EEviiiPKT0_S5_PT_PKfS9_ii: ; @_Z17wvSplitKQ_hf_sml_I6__halfN3c1015Float8_e4m3fnuzELi64ELi2ELi16ELi16ELi2ELi2EEviiiPKT0_S5_PT_PKfS9_ii
; %bb.0:
	s_add_u32 s6, s6, s9
	s_mov_b32 s32, 0
	s_addc_u32 s7, s7, 0
	s_setreg_b32 hwreg(HW_REG_FLAT_SCR_LO), s6
	s_setreg_b32 hwreg(HW_REG_FLAT_SCR_HI), s7
	s_add_u32 s0, s0, s9
	s_addc_u32 s1, s1, 0
	s_add_u32 s8, s4, 64
	s_addc_u32 s9, s5, 0
	s_getpc_b64 s[4:5]
	s_add_u32 s4, s4, __PRETTY_FUNCTION__._Z17wvSplitKQ_hf_sml_I6__halfN3c1015Float8_e4m3fnuzELi64ELi2ELi16ELi16ELi2ELi2EEviiiPKT0_S5_PT_PKfS9_ii@rel32@lo+4
	s_addc_u32 s5, s5, __PRETTY_FUNCTION__._Z17wvSplitKQ_hf_sml_I6__halfN3c1015Float8_e4m3fnuzELi64ELi2ELi16ELi16ELi2ELi2EEviiiPKT0_S5_PT_PKfS9_ii@rel32@hi+12
	v_mov_b32_e32 v0, 0x5c1
	v_mov_b32_e32 v1, s4
	;; [unrolled: 1-line block ×3, first 2 shown]
	s_getpc_b64 s[6:7]
	s_add_u32 s6, s6, __assert_fail@rel32@lo+4
	s_addc_u32 s7, s7, __assert_fail@rel32@hi+12
	s_swappc_b64 s[30:31], s[6:7]
	.section	.rodata,"a",@progbits
	.p2align	6, 0x0
	.amdhsa_kernel _Z17wvSplitKQ_hf_sml_I6__halfN3c1015Float8_e4m3fnuzELi64ELi2ELi16ELi16ELi2ELi2EEviiiPKT0_S5_PT_PKfS9_ii
		.amdhsa_group_segment_fixed_size 0
		.amdhsa_private_segment_fixed_size 64
		.amdhsa_kernarg_size 320
		.amdhsa_user_sgpr_count 8
		.amdhsa_user_sgpr_private_segment_buffer 1
		.amdhsa_user_sgpr_dispatch_ptr 0
		.amdhsa_user_sgpr_queue_ptr 0
		.amdhsa_user_sgpr_kernarg_segment_ptr 1
		.amdhsa_user_sgpr_dispatch_id 0
		.amdhsa_user_sgpr_flat_scratch_init 1
		.amdhsa_user_sgpr_private_segment_size 0
		.amdhsa_wavefront_size32 1
		.amdhsa_uses_dynamic_stack 0
		.amdhsa_system_sgpr_private_segment_wavefront_offset 1
		.amdhsa_system_sgpr_workgroup_id_x 1
		.amdhsa_system_sgpr_workgroup_id_y 0
		.amdhsa_system_sgpr_workgroup_id_z 0
		.amdhsa_system_sgpr_workgroup_info 0
		.amdhsa_system_vgpr_workitem_id 0
		.amdhsa_next_free_vgpr 41
		.amdhsa_next_free_sgpr 34
		.amdhsa_reserve_vcc 1
		.amdhsa_reserve_flat_scratch 1
		.amdhsa_float_round_mode_32 0
		.amdhsa_float_round_mode_16_64 0
		.amdhsa_float_denorm_mode_32 3
		.amdhsa_float_denorm_mode_16_64 3
		.amdhsa_dx10_clamp 1
		.amdhsa_ieee_mode 1
		.amdhsa_fp16_overflow 0
		.amdhsa_workgroup_processor_mode 1
		.amdhsa_memory_ordered 1
		.amdhsa_forward_progress 1
		.amdhsa_shared_vgpr_count 0
		.amdhsa_exception_fp_ieee_invalid_op 0
		.amdhsa_exception_fp_denorm_src 0
		.amdhsa_exception_fp_ieee_div_zero 0
		.amdhsa_exception_fp_ieee_overflow 0
		.amdhsa_exception_fp_ieee_underflow 0
		.amdhsa_exception_fp_ieee_inexact 0
		.amdhsa_exception_int_div_zero 0
	.end_amdhsa_kernel
	.section	.text._Z17wvSplitKQ_hf_sml_I6__halfN3c1015Float8_e4m3fnuzELi64ELi2ELi16ELi16ELi2ELi2EEviiiPKT0_S5_PT_PKfS9_ii,"axG",@progbits,_Z17wvSplitKQ_hf_sml_I6__halfN3c1015Float8_e4m3fnuzELi64ELi2ELi16ELi16ELi2ELi2EEviiiPKT0_S5_PT_PKfS9_ii,comdat
.Lfunc_end44:
	.size	_Z17wvSplitKQ_hf_sml_I6__halfN3c1015Float8_e4m3fnuzELi64ELi2ELi16ELi16ELi2ELi2EEviiiPKT0_S5_PT_PKfS9_ii, .Lfunc_end44-_Z17wvSplitKQ_hf_sml_I6__halfN3c1015Float8_e4m3fnuzELi64ELi2ELi16ELi16ELi2ELi2EEviiiPKT0_S5_PT_PKfS9_ii
                                        ; -- End function
	.set _Z17wvSplitKQ_hf_sml_I6__halfN3c1015Float8_e4m3fnuzELi64ELi2ELi16ELi16ELi2ELi2EEviiiPKT0_S5_PT_PKfS9_ii.num_vgpr, max(3, .L__assert_fail.num_vgpr)
	.set _Z17wvSplitKQ_hf_sml_I6__halfN3c1015Float8_e4m3fnuzELi64ELi2ELi16ELi16ELi2ELi2EEviiiPKT0_S5_PT_PKfS9_ii.num_agpr, max(0, .L__assert_fail.num_agpr)
	.set _Z17wvSplitKQ_hf_sml_I6__halfN3c1015Float8_e4m3fnuzELi64ELi2ELi16ELi16ELi2ELi2EEviiiPKT0_S5_PT_PKfS9_ii.numbered_sgpr, max(33, .L__assert_fail.numbered_sgpr)
	.set _Z17wvSplitKQ_hf_sml_I6__halfN3c1015Float8_e4m3fnuzELi64ELi2ELi16ELi16ELi2ELi2EEviiiPKT0_S5_PT_PKfS9_ii.num_named_barrier, max(0, .L__assert_fail.num_named_barrier)
	.set _Z17wvSplitKQ_hf_sml_I6__halfN3c1015Float8_e4m3fnuzELi64ELi2ELi16ELi16ELi2ELi2EEviiiPKT0_S5_PT_PKfS9_ii.private_seg_size, 0+max(.L__assert_fail.private_seg_size)
	.set _Z17wvSplitKQ_hf_sml_I6__halfN3c1015Float8_e4m3fnuzELi64ELi2ELi16ELi16ELi2ELi2EEviiiPKT0_S5_PT_PKfS9_ii.uses_vcc, or(1, .L__assert_fail.uses_vcc)
	.set _Z17wvSplitKQ_hf_sml_I6__halfN3c1015Float8_e4m3fnuzELi64ELi2ELi16ELi16ELi2ELi2EEviiiPKT0_S5_PT_PKfS9_ii.uses_flat_scratch, or(1, .L__assert_fail.uses_flat_scratch)
	.set _Z17wvSplitKQ_hf_sml_I6__halfN3c1015Float8_e4m3fnuzELi64ELi2ELi16ELi16ELi2ELi2EEviiiPKT0_S5_PT_PKfS9_ii.has_dyn_sized_stack, or(0, .L__assert_fail.has_dyn_sized_stack)
	.set _Z17wvSplitKQ_hf_sml_I6__halfN3c1015Float8_e4m3fnuzELi64ELi2ELi16ELi16ELi2ELi2EEviiiPKT0_S5_PT_PKfS9_ii.has_recursion, or(0, .L__assert_fail.has_recursion)
	.set _Z17wvSplitKQ_hf_sml_I6__halfN3c1015Float8_e4m3fnuzELi64ELi2ELi16ELi16ELi2ELi2EEviiiPKT0_S5_PT_PKfS9_ii.has_indirect_call, or(0, .L__assert_fail.has_indirect_call)
	.section	.AMDGPU.csdata,"",@progbits
; Kernel info:
; codeLenInByte = 96
; TotalNumSgprs: 36
; NumVgprs: 41
; ScratchSize: 64
; MemoryBound: 0
; FloatMode: 240
; IeeeMode: 1
; LDSByteSize: 0 bytes/workgroup (compile time only)
; SGPRBlocks: 0
; VGPRBlocks: 5
; NumSGPRsForWavesPerEU: 36
; NumVGPRsForWavesPerEU: 41
; Occupancy: 16
; WaveLimiterHint : 1
; COMPUTE_PGM_RSRC2:SCRATCH_EN: 1
; COMPUTE_PGM_RSRC2:USER_SGPR: 8
; COMPUTE_PGM_RSRC2:TRAP_HANDLER: 0
; COMPUTE_PGM_RSRC2:TGID_X_EN: 1
; COMPUTE_PGM_RSRC2:TGID_Y_EN: 0
; COMPUTE_PGM_RSRC2:TGID_Z_EN: 0
; COMPUTE_PGM_RSRC2:TIDIG_COMP_CNT: 0
	.section	.text._Z13wvSplitKQ_hf_I6__halfN3c1015Float8_e4m3fnuzELi64ELi2ELi16ELi16ELi2ELi2EEviiiPKT0_S5_PT_PKfS9_ii,"axG",@progbits,_Z13wvSplitKQ_hf_I6__halfN3c1015Float8_e4m3fnuzELi64ELi2ELi16ELi16ELi2ELi2EEviiiPKT0_S5_PT_PKfS9_ii,comdat
	.protected	_Z13wvSplitKQ_hf_I6__halfN3c1015Float8_e4m3fnuzELi64ELi2ELi16ELi16ELi2ELi2EEviiiPKT0_S5_PT_PKfS9_ii ; -- Begin function _Z13wvSplitKQ_hf_I6__halfN3c1015Float8_e4m3fnuzELi64ELi2ELi16ELi16ELi2ELi2EEviiiPKT0_S5_PT_PKfS9_ii
	.globl	_Z13wvSplitKQ_hf_I6__halfN3c1015Float8_e4m3fnuzELi64ELi2ELi16ELi16ELi2ELi2EEviiiPKT0_S5_PT_PKfS9_ii
	.p2align	8
	.type	_Z13wvSplitKQ_hf_I6__halfN3c1015Float8_e4m3fnuzELi64ELi2ELi16ELi16ELi2ELi2EEviiiPKT0_S5_PT_PKfS9_ii,@function
_Z13wvSplitKQ_hf_I6__halfN3c1015Float8_e4m3fnuzELi64ELi2ELi16ELi16ELi2ELi2EEviiiPKT0_S5_PT_PKfS9_ii: ; @_Z13wvSplitKQ_hf_I6__halfN3c1015Float8_e4m3fnuzELi64ELi2ELi16ELi16ELi2ELi2EEviiiPKT0_S5_PT_PKfS9_ii
; %bb.0:
	s_add_u32 s6, s6, s9
	s_mov_b32 s32, 0
	s_addc_u32 s7, s7, 0
	s_setreg_b32 hwreg(HW_REG_FLAT_SCR_LO), s6
	s_setreg_b32 hwreg(HW_REG_FLAT_SCR_HI), s7
	s_add_u32 s0, s0, s9
	s_addc_u32 s1, s1, 0
	s_add_u32 s8, s4, 64
	s_addc_u32 s9, s5, 0
	s_getpc_b64 s[4:5]
	s_add_u32 s4, s4, __PRETTY_FUNCTION__._Z13wvSplitKQ_hf_I6__halfN3c1015Float8_e4m3fnuzELi64ELi2ELi16ELi16ELi2ELi2EEviiiPKT0_S5_PT_PKfS9_ii@rel32@lo+4
	s_addc_u32 s5, s5, __PRETTY_FUNCTION__._Z13wvSplitKQ_hf_I6__halfN3c1015Float8_e4m3fnuzELi64ELi2ELi16ELi16ELi2ELi2EEviiiPKT0_S5_PT_PKfS9_ii@rel32@hi+12
	v_mov_b32_e32 v0, 0x66e
	v_mov_b32_e32 v1, s4
	;; [unrolled: 1-line block ×3, first 2 shown]
	s_getpc_b64 s[6:7]
	s_add_u32 s6, s6, __assert_fail@rel32@lo+4
	s_addc_u32 s7, s7, __assert_fail@rel32@hi+12
	s_swappc_b64 s[30:31], s[6:7]
	.section	.rodata,"a",@progbits
	.p2align	6, 0x0
	.amdhsa_kernel _Z13wvSplitKQ_hf_I6__halfN3c1015Float8_e4m3fnuzELi64ELi2ELi16ELi16ELi2ELi2EEviiiPKT0_S5_PT_PKfS9_ii
		.amdhsa_group_segment_fixed_size 0
		.amdhsa_private_segment_fixed_size 64
		.amdhsa_kernarg_size 320
		.amdhsa_user_sgpr_count 8
		.amdhsa_user_sgpr_private_segment_buffer 1
		.amdhsa_user_sgpr_dispatch_ptr 0
		.amdhsa_user_sgpr_queue_ptr 0
		.amdhsa_user_sgpr_kernarg_segment_ptr 1
		.amdhsa_user_sgpr_dispatch_id 0
		.amdhsa_user_sgpr_flat_scratch_init 1
		.amdhsa_user_sgpr_private_segment_size 0
		.amdhsa_wavefront_size32 1
		.amdhsa_uses_dynamic_stack 0
		.amdhsa_system_sgpr_private_segment_wavefront_offset 1
		.amdhsa_system_sgpr_workgroup_id_x 1
		.amdhsa_system_sgpr_workgroup_id_y 0
		.amdhsa_system_sgpr_workgroup_id_z 0
		.amdhsa_system_sgpr_workgroup_info 0
		.amdhsa_system_vgpr_workitem_id 0
		.amdhsa_next_free_vgpr 41
		.amdhsa_next_free_sgpr 34
		.amdhsa_reserve_vcc 1
		.amdhsa_reserve_flat_scratch 1
		.amdhsa_float_round_mode_32 0
		.amdhsa_float_round_mode_16_64 0
		.amdhsa_float_denorm_mode_32 3
		.amdhsa_float_denorm_mode_16_64 3
		.amdhsa_dx10_clamp 1
		.amdhsa_ieee_mode 1
		.amdhsa_fp16_overflow 0
		.amdhsa_workgroup_processor_mode 1
		.amdhsa_memory_ordered 1
		.amdhsa_forward_progress 1
		.amdhsa_shared_vgpr_count 0
		.amdhsa_exception_fp_ieee_invalid_op 0
		.amdhsa_exception_fp_denorm_src 0
		.amdhsa_exception_fp_ieee_div_zero 0
		.amdhsa_exception_fp_ieee_overflow 0
		.amdhsa_exception_fp_ieee_underflow 0
		.amdhsa_exception_fp_ieee_inexact 0
		.amdhsa_exception_int_div_zero 0
	.end_amdhsa_kernel
	.section	.text._Z13wvSplitKQ_hf_I6__halfN3c1015Float8_e4m3fnuzELi64ELi2ELi16ELi16ELi2ELi2EEviiiPKT0_S5_PT_PKfS9_ii,"axG",@progbits,_Z13wvSplitKQ_hf_I6__halfN3c1015Float8_e4m3fnuzELi64ELi2ELi16ELi16ELi2ELi2EEviiiPKT0_S5_PT_PKfS9_ii,comdat
.Lfunc_end45:
	.size	_Z13wvSplitKQ_hf_I6__halfN3c1015Float8_e4m3fnuzELi64ELi2ELi16ELi16ELi2ELi2EEviiiPKT0_S5_PT_PKfS9_ii, .Lfunc_end45-_Z13wvSplitKQ_hf_I6__halfN3c1015Float8_e4m3fnuzELi64ELi2ELi16ELi16ELi2ELi2EEviiiPKT0_S5_PT_PKfS9_ii
                                        ; -- End function
	.set _Z13wvSplitKQ_hf_I6__halfN3c1015Float8_e4m3fnuzELi64ELi2ELi16ELi16ELi2ELi2EEviiiPKT0_S5_PT_PKfS9_ii.num_vgpr, max(3, .L__assert_fail.num_vgpr)
	.set _Z13wvSplitKQ_hf_I6__halfN3c1015Float8_e4m3fnuzELi64ELi2ELi16ELi16ELi2ELi2EEviiiPKT0_S5_PT_PKfS9_ii.num_agpr, max(0, .L__assert_fail.num_agpr)
	.set _Z13wvSplitKQ_hf_I6__halfN3c1015Float8_e4m3fnuzELi64ELi2ELi16ELi16ELi2ELi2EEviiiPKT0_S5_PT_PKfS9_ii.numbered_sgpr, max(33, .L__assert_fail.numbered_sgpr)
	.set _Z13wvSplitKQ_hf_I6__halfN3c1015Float8_e4m3fnuzELi64ELi2ELi16ELi16ELi2ELi2EEviiiPKT0_S5_PT_PKfS9_ii.num_named_barrier, max(0, .L__assert_fail.num_named_barrier)
	.set _Z13wvSplitKQ_hf_I6__halfN3c1015Float8_e4m3fnuzELi64ELi2ELi16ELi16ELi2ELi2EEviiiPKT0_S5_PT_PKfS9_ii.private_seg_size, 0+max(.L__assert_fail.private_seg_size)
	.set _Z13wvSplitKQ_hf_I6__halfN3c1015Float8_e4m3fnuzELi64ELi2ELi16ELi16ELi2ELi2EEviiiPKT0_S5_PT_PKfS9_ii.uses_vcc, or(1, .L__assert_fail.uses_vcc)
	.set _Z13wvSplitKQ_hf_I6__halfN3c1015Float8_e4m3fnuzELi64ELi2ELi16ELi16ELi2ELi2EEviiiPKT0_S5_PT_PKfS9_ii.uses_flat_scratch, or(1, .L__assert_fail.uses_flat_scratch)
	.set _Z13wvSplitKQ_hf_I6__halfN3c1015Float8_e4m3fnuzELi64ELi2ELi16ELi16ELi2ELi2EEviiiPKT0_S5_PT_PKfS9_ii.has_dyn_sized_stack, or(0, .L__assert_fail.has_dyn_sized_stack)
	.set _Z13wvSplitKQ_hf_I6__halfN3c1015Float8_e4m3fnuzELi64ELi2ELi16ELi16ELi2ELi2EEviiiPKT0_S5_PT_PKfS9_ii.has_recursion, or(0, .L__assert_fail.has_recursion)
	.set _Z13wvSplitKQ_hf_I6__halfN3c1015Float8_e4m3fnuzELi64ELi2ELi16ELi16ELi2ELi2EEviiiPKT0_S5_PT_PKfS9_ii.has_indirect_call, or(0, .L__assert_fail.has_indirect_call)
	.section	.AMDGPU.csdata,"",@progbits
; Kernel info:
; codeLenInByte = 96
; TotalNumSgprs: 36
; NumVgprs: 41
; ScratchSize: 64
; MemoryBound: 0
; FloatMode: 240
; IeeeMode: 1
; LDSByteSize: 0 bytes/workgroup (compile time only)
; SGPRBlocks: 0
; VGPRBlocks: 5
; NumSGPRsForWavesPerEU: 36
; NumVGPRsForWavesPerEU: 41
; Occupancy: 16
; WaveLimiterHint : 1
; COMPUTE_PGM_RSRC2:SCRATCH_EN: 1
; COMPUTE_PGM_RSRC2:USER_SGPR: 8
; COMPUTE_PGM_RSRC2:TRAP_HANDLER: 0
; COMPUTE_PGM_RSRC2:TGID_X_EN: 1
; COMPUTE_PGM_RSRC2:TGID_Y_EN: 0
; COMPUTE_PGM_RSRC2:TGID_Z_EN: 0
; COMPUTE_PGM_RSRC2:TIDIG_COMP_CNT: 0
	.section	.text._Z17wvSplitKQ_hf_sml_I6__halfN3c1015Float8_e4m3fnuzELi64ELi4ELi16ELi16ELi1ELi3EEviiiPKT0_S5_PT_PKfS9_ii,"axG",@progbits,_Z17wvSplitKQ_hf_sml_I6__halfN3c1015Float8_e4m3fnuzELi64ELi4ELi16ELi16ELi1ELi3EEviiiPKT0_S5_PT_PKfS9_ii,comdat
	.protected	_Z17wvSplitKQ_hf_sml_I6__halfN3c1015Float8_e4m3fnuzELi64ELi4ELi16ELi16ELi1ELi3EEviiiPKT0_S5_PT_PKfS9_ii ; -- Begin function _Z17wvSplitKQ_hf_sml_I6__halfN3c1015Float8_e4m3fnuzELi64ELi4ELi16ELi16ELi1ELi3EEviiiPKT0_S5_PT_PKfS9_ii
	.globl	_Z17wvSplitKQ_hf_sml_I6__halfN3c1015Float8_e4m3fnuzELi64ELi4ELi16ELi16ELi1ELi3EEviiiPKT0_S5_PT_PKfS9_ii
	.p2align	8
	.type	_Z17wvSplitKQ_hf_sml_I6__halfN3c1015Float8_e4m3fnuzELi64ELi4ELi16ELi16ELi1ELi3EEviiiPKT0_S5_PT_PKfS9_ii,@function
_Z17wvSplitKQ_hf_sml_I6__halfN3c1015Float8_e4m3fnuzELi64ELi4ELi16ELi16ELi1ELi3EEviiiPKT0_S5_PT_PKfS9_ii: ; @_Z17wvSplitKQ_hf_sml_I6__halfN3c1015Float8_e4m3fnuzELi64ELi4ELi16ELi16ELi1ELi3EEviiiPKT0_S5_PT_PKfS9_ii
; %bb.0:
	s_add_u32 s6, s6, s9
	s_mov_b32 s32, 0
	s_addc_u32 s7, s7, 0
	s_setreg_b32 hwreg(HW_REG_FLAT_SCR_LO), s6
	s_setreg_b32 hwreg(HW_REG_FLAT_SCR_HI), s7
	s_add_u32 s0, s0, s9
	s_addc_u32 s1, s1, 0
	s_add_u32 s8, s4, 64
	s_addc_u32 s9, s5, 0
	s_getpc_b64 s[4:5]
	s_add_u32 s4, s4, __PRETTY_FUNCTION__._Z17wvSplitKQ_hf_sml_I6__halfN3c1015Float8_e4m3fnuzELi64ELi4ELi16ELi16ELi1ELi3EEviiiPKT0_S5_PT_PKfS9_ii@rel32@lo+4
	s_addc_u32 s5, s5, __PRETTY_FUNCTION__._Z17wvSplitKQ_hf_sml_I6__halfN3c1015Float8_e4m3fnuzELi64ELi4ELi16ELi16ELi1ELi3EEviiiPKT0_S5_PT_PKfS9_ii@rel32@hi+12
	v_mov_b32_e32 v0, 0x5c1
	v_mov_b32_e32 v1, s4
	;; [unrolled: 1-line block ×3, first 2 shown]
	s_getpc_b64 s[6:7]
	s_add_u32 s6, s6, __assert_fail@rel32@lo+4
	s_addc_u32 s7, s7, __assert_fail@rel32@hi+12
	s_swappc_b64 s[30:31], s[6:7]
	.section	.rodata,"a",@progbits
	.p2align	6, 0x0
	.amdhsa_kernel _Z17wvSplitKQ_hf_sml_I6__halfN3c1015Float8_e4m3fnuzELi64ELi4ELi16ELi16ELi1ELi3EEviiiPKT0_S5_PT_PKfS9_ii
		.amdhsa_group_segment_fixed_size 0
		.amdhsa_private_segment_fixed_size 64
		.amdhsa_kernarg_size 320
		.amdhsa_user_sgpr_count 8
		.amdhsa_user_sgpr_private_segment_buffer 1
		.amdhsa_user_sgpr_dispatch_ptr 0
		.amdhsa_user_sgpr_queue_ptr 0
		.amdhsa_user_sgpr_kernarg_segment_ptr 1
		.amdhsa_user_sgpr_dispatch_id 0
		.amdhsa_user_sgpr_flat_scratch_init 1
		.amdhsa_user_sgpr_private_segment_size 0
		.amdhsa_wavefront_size32 1
		.amdhsa_uses_dynamic_stack 0
		.amdhsa_system_sgpr_private_segment_wavefront_offset 1
		.amdhsa_system_sgpr_workgroup_id_x 1
		.amdhsa_system_sgpr_workgroup_id_y 0
		.amdhsa_system_sgpr_workgroup_id_z 0
		.amdhsa_system_sgpr_workgroup_info 0
		.amdhsa_system_vgpr_workitem_id 0
		.amdhsa_next_free_vgpr 41
		.amdhsa_next_free_sgpr 34
		.amdhsa_reserve_vcc 1
		.amdhsa_reserve_flat_scratch 1
		.amdhsa_float_round_mode_32 0
		.amdhsa_float_round_mode_16_64 0
		.amdhsa_float_denorm_mode_32 3
		.amdhsa_float_denorm_mode_16_64 3
		.amdhsa_dx10_clamp 1
		.amdhsa_ieee_mode 1
		.amdhsa_fp16_overflow 0
		.amdhsa_workgroup_processor_mode 1
		.amdhsa_memory_ordered 1
		.amdhsa_forward_progress 1
		.amdhsa_shared_vgpr_count 0
		.amdhsa_exception_fp_ieee_invalid_op 0
		.amdhsa_exception_fp_denorm_src 0
		.amdhsa_exception_fp_ieee_div_zero 0
		.amdhsa_exception_fp_ieee_overflow 0
		.amdhsa_exception_fp_ieee_underflow 0
		.amdhsa_exception_fp_ieee_inexact 0
		.amdhsa_exception_int_div_zero 0
	.end_amdhsa_kernel
	.section	.text._Z17wvSplitKQ_hf_sml_I6__halfN3c1015Float8_e4m3fnuzELi64ELi4ELi16ELi16ELi1ELi3EEviiiPKT0_S5_PT_PKfS9_ii,"axG",@progbits,_Z17wvSplitKQ_hf_sml_I6__halfN3c1015Float8_e4m3fnuzELi64ELi4ELi16ELi16ELi1ELi3EEviiiPKT0_S5_PT_PKfS9_ii,comdat
.Lfunc_end46:
	.size	_Z17wvSplitKQ_hf_sml_I6__halfN3c1015Float8_e4m3fnuzELi64ELi4ELi16ELi16ELi1ELi3EEviiiPKT0_S5_PT_PKfS9_ii, .Lfunc_end46-_Z17wvSplitKQ_hf_sml_I6__halfN3c1015Float8_e4m3fnuzELi64ELi4ELi16ELi16ELi1ELi3EEviiiPKT0_S5_PT_PKfS9_ii
                                        ; -- End function
	.set _Z17wvSplitKQ_hf_sml_I6__halfN3c1015Float8_e4m3fnuzELi64ELi4ELi16ELi16ELi1ELi3EEviiiPKT0_S5_PT_PKfS9_ii.num_vgpr, max(3, .L__assert_fail.num_vgpr)
	.set _Z17wvSplitKQ_hf_sml_I6__halfN3c1015Float8_e4m3fnuzELi64ELi4ELi16ELi16ELi1ELi3EEviiiPKT0_S5_PT_PKfS9_ii.num_agpr, max(0, .L__assert_fail.num_agpr)
	.set _Z17wvSplitKQ_hf_sml_I6__halfN3c1015Float8_e4m3fnuzELi64ELi4ELi16ELi16ELi1ELi3EEviiiPKT0_S5_PT_PKfS9_ii.numbered_sgpr, max(33, .L__assert_fail.numbered_sgpr)
	.set _Z17wvSplitKQ_hf_sml_I6__halfN3c1015Float8_e4m3fnuzELi64ELi4ELi16ELi16ELi1ELi3EEviiiPKT0_S5_PT_PKfS9_ii.num_named_barrier, max(0, .L__assert_fail.num_named_barrier)
	.set _Z17wvSplitKQ_hf_sml_I6__halfN3c1015Float8_e4m3fnuzELi64ELi4ELi16ELi16ELi1ELi3EEviiiPKT0_S5_PT_PKfS9_ii.private_seg_size, 0+max(.L__assert_fail.private_seg_size)
	.set _Z17wvSplitKQ_hf_sml_I6__halfN3c1015Float8_e4m3fnuzELi64ELi4ELi16ELi16ELi1ELi3EEviiiPKT0_S5_PT_PKfS9_ii.uses_vcc, or(1, .L__assert_fail.uses_vcc)
	.set _Z17wvSplitKQ_hf_sml_I6__halfN3c1015Float8_e4m3fnuzELi64ELi4ELi16ELi16ELi1ELi3EEviiiPKT0_S5_PT_PKfS9_ii.uses_flat_scratch, or(1, .L__assert_fail.uses_flat_scratch)
	.set _Z17wvSplitKQ_hf_sml_I6__halfN3c1015Float8_e4m3fnuzELi64ELi4ELi16ELi16ELi1ELi3EEviiiPKT0_S5_PT_PKfS9_ii.has_dyn_sized_stack, or(0, .L__assert_fail.has_dyn_sized_stack)
	.set _Z17wvSplitKQ_hf_sml_I6__halfN3c1015Float8_e4m3fnuzELi64ELi4ELi16ELi16ELi1ELi3EEviiiPKT0_S5_PT_PKfS9_ii.has_recursion, or(0, .L__assert_fail.has_recursion)
	.set _Z17wvSplitKQ_hf_sml_I6__halfN3c1015Float8_e4m3fnuzELi64ELi4ELi16ELi16ELi1ELi3EEviiiPKT0_S5_PT_PKfS9_ii.has_indirect_call, or(0, .L__assert_fail.has_indirect_call)
	.section	.AMDGPU.csdata,"",@progbits
; Kernel info:
; codeLenInByte = 96
; TotalNumSgprs: 36
; NumVgprs: 41
; ScratchSize: 64
; MemoryBound: 0
; FloatMode: 240
; IeeeMode: 1
; LDSByteSize: 0 bytes/workgroup (compile time only)
; SGPRBlocks: 0
; VGPRBlocks: 5
; NumSGPRsForWavesPerEU: 36
; NumVGPRsForWavesPerEU: 41
; Occupancy: 16
; WaveLimiterHint : 1
; COMPUTE_PGM_RSRC2:SCRATCH_EN: 1
; COMPUTE_PGM_RSRC2:USER_SGPR: 8
; COMPUTE_PGM_RSRC2:TRAP_HANDLER: 0
; COMPUTE_PGM_RSRC2:TGID_X_EN: 1
; COMPUTE_PGM_RSRC2:TGID_Y_EN: 0
; COMPUTE_PGM_RSRC2:TGID_Z_EN: 0
; COMPUTE_PGM_RSRC2:TIDIG_COMP_CNT: 0
	.section	.text._Z13wvSplitKQ_hf_I6__halfN3c1015Float8_e4m3fnuzELi64ELi7ELi16ELi16ELi1ELi3EEviiiPKT0_S5_PT_PKfS9_ii,"axG",@progbits,_Z13wvSplitKQ_hf_I6__halfN3c1015Float8_e4m3fnuzELi64ELi7ELi16ELi16ELi1ELi3EEviiiPKT0_S5_PT_PKfS9_ii,comdat
	.protected	_Z13wvSplitKQ_hf_I6__halfN3c1015Float8_e4m3fnuzELi64ELi7ELi16ELi16ELi1ELi3EEviiiPKT0_S5_PT_PKfS9_ii ; -- Begin function _Z13wvSplitKQ_hf_I6__halfN3c1015Float8_e4m3fnuzELi64ELi7ELi16ELi16ELi1ELi3EEviiiPKT0_S5_PT_PKfS9_ii
	.globl	_Z13wvSplitKQ_hf_I6__halfN3c1015Float8_e4m3fnuzELi64ELi7ELi16ELi16ELi1ELi3EEviiiPKT0_S5_PT_PKfS9_ii
	.p2align	8
	.type	_Z13wvSplitKQ_hf_I6__halfN3c1015Float8_e4m3fnuzELi64ELi7ELi16ELi16ELi1ELi3EEviiiPKT0_S5_PT_PKfS9_ii,@function
_Z13wvSplitKQ_hf_I6__halfN3c1015Float8_e4m3fnuzELi64ELi7ELi16ELi16ELi1ELi3EEviiiPKT0_S5_PT_PKfS9_ii: ; @_Z13wvSplitKQ_hf_I6__halfN3c1015Float8_e4m3fnuzELi64ELi7ELi16ELi16ELi1ELi3EEviiiPKT0_S5_PT_PKfS9_ii
; %bb.0:
	s_add_u32 s6, s6, s9
	s_mov_b32 s32, 0
	s_addc_u32 s7, s7, 0
	s_setreg_b32 hwreg(HW_REG_FLAT_SCR_LO), s6
	s_setreg_b32 hwreg(HW_REG_FLAT_SCR_HI), s7
	s_add_u32 s0, s0, s9
	s_addc_u32 s1, s1, 0
	s_add_u32 s8, s4, 64
	s_addc_u32 s9, s5, 0
	s_getpc_b64 s[4:5]
	s_add_u32 s4, s4, __PRETTY_FUNCTION__._Z13wvSplitKQ_hf_I6__halfN3c1015Float8_e4m3fnuzELi64ELi7ELi16ELi16ELi1ELi3EEviiiPKT0_S5_PT_PKfS9_ii@rel32@lo+4
	s_addc_u32 s5, s5, __PRETTY_FUNCTION__._Z13wvSplitKQ_hf_I6__halfN3c1015Float8_e4m3fnuzELi64ELi7ELi16ELi16ELi1ELi3EEviiiPKT0_S5_PT_PKfS9_ii@rel32@hi+12
	v_mov_b32_e32 v0, 0x66e
	v_mov_b32_e32 v1, s4
	;; [unrolled: 1-line block ×3, first 2 shown]
	s_getpc_b64 s[6:7]
	s_add_u32 s6, s6, __assert_fail@rel32@lo+4
	s_addc_u32 s7, s7, __assert_fail@rel32@hi+12
	s_swappc_b64 s[30:31], s[6:7]
	.section	.rodata,"a",@progbits
	.p2align	6, 0x0
	.amdhsa_kernel _Z13wvSplitKQ_hf_I6__halfN3c1015Float8_e4m3fnuzELi64ELi7ELi16ELi16ELi1ELi3EEviiiPKT0_S5_PT_PKfS9_ii
		.amdhsa_group_segment_fixed_size 0
		.amdhsa_private_segment_fixed_size 64
		.amdhsa_kernarg_size 320
		.amdhsa_user_sgpr_count 8
		.amdhsa_user_sgpr_private_segment_buffer 1
		.amdhsa_user_sgpr_dispatch_ptr 0
		.amdhsa_user_sgpr_queue_ptr 0
		.amdhsa_user_sgpr_kernarg_segment_ptr 1
		.amdhsa_user_sgpr_dispatch_id 0
		.amdhsa_user_sgpr_flat_scratch_init 1
		.amdhsa_user_sgpr_private_segment_size 0
		.amdhsa_wavefront_size32 1
		.amdhsa_uses_dynamic_stack 0
		.amdhsa_system_sgpr_private_segment_wavefront_offset 1
		.amdhsa_system_sgpr_workgroup_id_x 1
		.amdhsa_system_sgpr_workgroup_id_y 0
		.amdhsa_system_sgpr_workgroup_id_z 0
		.amdhsa_system_sgpr_workgroup_info 0
		.amdhsa_system_vgpr_workitem_id 0
		.amdhsa_next_free_vgpr 41
		.amdhsa_next_free_sgpr 34
		.amdhsa_reserve_vcc 1
		.amdhsa_reserve_flat_scratch 1
		.amdhsa_float_round_mode_32 0
		.amdhsa_float_round_mode_16_64 0
		.amdhsa_float_denorm_mode_32 3
		.amdhsa_float_denorm_mode_16_64 3
		.amdhsa_dx10_clamp 1
		.amdhsa_ieee_mode 1
		.amdhsa_fp16_overflow 0
		.amdhsa_workgroup_processor_mode 1
		.amdhsa_memory_ordered 1
		.amdhsa_forward_progress 1
		.amdhsa_shared_vgpr_count 0
		.amdhsa_exception_fp_ieee_invalid_op 0
		.amdhsa_exception_fp_denorm_src 0
		.amdhsa_exception_fp_ieee_div_zero 0
		.amdhsa_exception_fp_ieee_overflow 0
		.amdhsa_exception_fp_ieee_underflow 0
		.amdhsa_exception_fp_ieee_inexact 0
		.amdhsa_exception_int_div_zero 0
	.end_amdhsa_kernel
	.section	.text._Z13wvSplitKQ_hf_I6__halfN3c1015Float8_e4m3fnuzELi64ELi7ELi16ELi16ELi1ELi3EEviiiPKT0_S5_PT_PKfS9_ii,"axG",@progbits,_Z13wvSplitKQ_hf_I6__halfN3c1015Float8_e4m3fnuzELi64ELi7ELi16ELi16ELi1ELi3EEviiiPKT0_S5_PT_PKfS9_ii,comdat
.Lfunc_end47:
	.size	_Z13wvSplitKQ_hf_I6__halfN3c1015Float8_e4m3fnuzELi64ELi7ELi16ELi16ELi1ELi3EEviiiPKT0_S5_PT_PKfS9_ii, .Lfunc_end47-_Z13wvSplitKQ_hf_I6__halfN3c1015Float8_e4m3fnuzELi64ELi7ELi16ELi16ELi1ELi3EEviiiPKT0_S5_PT_PKfS9_ii
                                        ; -- End function
	.set _Z13wvSplitKQ_hf_I6__halfN3c1015Float8_e4m3fnuzELi64ELi7ELi16ELi16ELi1ELi3EEviiiPKT0_S5_PT_PKfS9_ii.num_vgpr, max(3, .L__assert_fail.num_vgpr)
	.set _Z13wvSplitKQ_hf_I6__halfN3c1015Float8_e4m3fnuzELi64ELi7ELi16ELi16ELi1ELi3EEviiiPKT0_S5_PT_PKfS9_ii.num_agpr, max(0, .L__assert_fail.num_agpr)
	.set _Z13wvSplitKQ_hf_I6__halfN3c1015Float8_e4m3fnuzELi64ELi7ELi16ELi16ELi1ELi3EEviiiPKT0_S5_PT_PKfS9_ii.numbered_sgpr, max(33, .L__assert_fail.numbered_sgpr)
	.set _Z13wvSplitKQ_hf_I6__halfN3c1015Float8_e4m3fnuzELi64ELi7ELi16ELi16ELi1ELi3EEviiiPKT0_S5_PT_PKfS9_ii.num_named_barrier, max(0, .L__assert_fail.num_named_barrier)
	.set _Z13wvSplitKQ_hf_I6__halfN3c1015Float8_e4m3fnuzELi64ELi7ELi16ELi16ELi1ELi3EEviiiPKT0_S5_PT_PKfS9_ii.private_seg_size, 0+max(.L__assert_fail.private_seg_size)
	.set _Z13wvSplitKQ_hf_I6__halfN3c1015Float8_e4m3fnuzELi64ELi7ELi16ELi16ELi1ELi3EEviiiPKT0_S5_PT_PKfS9_ii.uses_vcc, or(1, .L__assert_fail.uses_vcc)
	.set _Z13wvSplitKQ_hf_I6__halfN3c1015Float8_e4m3fnuzELi64ELi7ELi16ELi16ELi1ELi3EEviiiPKT0_S5_PT_PKfS9_ii.uses_flat_scratch, or(1, .L__assert_fail.uses_flat_scratch)
	.set _Z13wvSplitKQ_hf_I6__halfN3c1015Float8_e4m3fnuzELi64ELi7ELi16ELi16ELi1ELi3EEviiiPKT0_S5_PT_PKfS9_ii.has_dyn_sized_stack, or(0, .L__assert_fail.has_dyn_sized_stack)
	.set _Z13wvSplitKQ_hf_I6__halfN3c1015Float8_e4m3fnuzELi64ELi7ELi16ELi16ELi1ELi3EEviiiPKT0_S5_PT_PKfS9_ii.has_recursion, or(0, .L__assert_fail.has_recursion)
	.set _Z13wvSplitKQ_hf_I6__halfN3c1015Float8_e4m3fnuzELi64ELi7ELi16ELi16ELi1ELi3EEviiiPKT0_S5_PT_PKfS9_ii.has_indirect_call, or(0, .L__assert_fail.has_indirect_call)
	.section	.AMDGPU.csdata,"",@progbits
; Kernel info:
; codeLenInByte = 96
; TotalNumSgprs: 36
; NumVgprs: 41
; ScratchSize: 64
; MemoryBound: 0
; FloatMode: 240
; IeeeMode: 1
; LDSByteSize: 0 bytes/workgroup (compile time only)
; SGPRBlocks: 0
; VGPRBlocks: 5
; NumSGPRsForWavesPerEU: 36
; NumVGPRsForWavesPerEU: 41
; Occupancy: 16
; WaveLimiterHint : 1
; COMPUTE_PGM_RSRC2:SCRATCH_EN: 1
; COMPUTE_PGM_RSRC2:USER_SGPR: 8
; COMPUTE_PGM_RSRC2:TRAP_HANDLER: 0
; COMPUTE_PGM_RSRC2:TGID_X_EN: 1
; COMPUTE_PGM_RSRC2:TGID_Y_EN: 0
; COMPUTE_PGM_RSRC2:TGID_Z_EN: 0
; COMPUTE_PGM_RSRC2:TIDIG_COMP_CNT: 0
	.section	.text._Z17wvSplitKQ_hf_sml_I6__halfN3c1015Float8_e4m3fnuzELi64ELi4ELi16ELi16ELi1ELi4EEviiiPKT0_S5_PT_PKfS9_ii,"axG",@progbits,_Z17wvSplitKQ_hf_sml_I6__halfN3c1015Float8_e4m3fnuzELi64ELi4ELi16ELi16ELi1ELi4EEviiiPKT0_S5_PT_PKfS9_ii,comdat
	.protected	_Z17wvSplitKQ_hf_sml_I6__halfN3c1015Float8_e4m3fnuzELi64ELi4ELi16ELi16ELi1ELi4EEviiiPKT0_S5_PT_PKfS9_ii ; -- Begin function _Z17wvSplitKQ_hf_sml_I6__halfN3c1015Float8_e4m3fnuzELi64ELi4ELi16ELi16ELi1ELi4EEviiiPKT0_S5_PT_PKfS9_ii
	.globl	_Z17wvSplitKQ_hf_sml_I6__halfN3c1015Float8_e4m3fnuzELi64ELi4ELi16ELi16ELi1ELi4EEviiiPKT0_S5_PT_PKfS9_ii
	.p2align	8
	.type	_Z17wvSplitKQ_hf_sml_I6__halfN3c1015Float8_e4m3fnuzELi64ELi4ELi16ELi16ELi1ELi4EEviiiPKT0_S5_PT_PKfS9_ii,@function
_Z17wvSplitKQ_hf_sml_I6__halfN3c1015Float8_e4m3fnuzELi64ELi4ELi16ELi16ELi1ELi4EEviiiPKT0_S5_PT_PKfS9_ii: ; @_Z17wvSplitKQ_hf_sml_I6__halfN3c1015Float8_e4m3fnuzELi64ELi4ELi16ELi16ELi1ELi4EEviiiPKT0_S5_PT_PKfS9_ii
; %bb.0:
	s_add_u32 s6, s6, s9
	s_mov_b32 s32, 0
	s_addc_u32 s7, s7, 0
	s_setreg_b32 hwreg(HW_REG_FLAT_SCR_LO), s6
	s_setreg_b32 hwreg(HW_REG_FLAT_SCR_HI), s7
	s_add_u32 s0, s0, s9
	s_addc_u32 s1, s1, 0
	s_add_u32 s8, s4, 64
	s_addc_u32 s9, s5, 0
	s_getpc_b64 s[4:5]
	s_add_u32 s4, s4, __PRETTY_FUNCTION__._Z17wvSplitKQ_hf_sml_I6__halfN3c1015Float8_e4m3fnuzELi64ELi4ELi16ELi16ELi1ELi4EEviiiPKT0_S5_PT_PKfS9_ii@rel32@lo+4
	s_addc_u32 s5, s5, __PRETTY_FUNCTION__._Z17wvSplitKQ_hf_sml_I6__halfN3c1015Float8_e4m3fnuzELi64ELi4ELi16ELi16ELi1ELi4EEviiiPKT0_S5_PT_PKfS9_ii@rel32@hi+12
	v_mov_b32_e32 v0, 0x5c1
	v_mov_b32_e32 v1, s4
	;; [unrolled: 1-line block ×3, first 2 shown]
	s_getpc_b64 s[6:7]
	s_add_u32 s6, s6, __assert_fail@rel32@lo+4
	s_addc_u32 s7, s7, __assert_fail@rel32@hi+12
	s_swappc_b64 s[30:31], s[6:7]
	.section	.rodata,"a",@progbits
	.p2align	6, 0x0
	.amdhsa_kernel _Z17wvSplitKQ_hf_sml_I6__halfN3c1015Float8_e4m3fnuzELi64ELi4ELi16ELi16ELi1ELi4EEviiiPKT0_S5_PT_PKfS9_ii
		.amdhsa_group_segment_fixed_size 0
		.amdhsa_private_segment_fixed_size 64
		.amdhsa_kernarg_size 320
		.amdhsa_user_sgpr_count 8
		.amdhsa_user_sgpr_private_segment_buffer 1
		.amdhsa_user_sgpr_dispatch_ptr 0
		.amdhsa_user_sgpr_queue_ptr 0
		.amdhsa_user_sgpr_kernarg_segment_ptr 1
		.amdhsa_user_sgpr_dispatch_id 0
		.amdhsa_user_sgpr_flat_scratch_init 1
		.amdhsa_user_sgpr_private_segment_size 0
		.amdhsa_wavefront_size32 1
		.amdhsa_uses_dynamic_stack 0
		.amdhsa_system_sgpr_private_segment_wavefront_offset 1
		.amdhsa_system_sgpr_workgroup_id_x 1
		.amdhsa_system_sgpr_workgroup_id_y 0
		.amdhsa_system_sgpr_workgroup_id_z 0
		.amdhsa_system_sgpr_workgroup_info 0
		.amdhsa_system_vgpr_workitem_id 0
		.amdhsa_next_free_vgpr 41
		.amdhsa_next_free_sgpr 34
		.amdhsa_reserve_vcc 1
		.amdhsa_reserve_flat_scratch 1
		.amdhsa_float_round_mode_32 0
		.amdhsa_float_round_mode_16_64 0
		.amdhsa_float_denorm_mode_32 3
		.amdhsa_float_denorm_mode_16_64 3
		.amdhsa_dx10_clamp 1
		.amdhsa_ieee_mode 1
		.amdhsa_fp16_overflow 0
		.amdhsa_workgroup_processor_mode 1
		.amdhsa_memory_ordered 1
		.amdhsa_forward_progress 1
		.amdhsa_shared_vgpr_count 0
		.amdhsa_exception_fp_ieee_invalid_op 0
		.amdhsa_exception_fp_denorm_src 0
		.amdhsa_exception_fp_ieee_div_zero 0
		.amdhsa_exception_fp_ieee_overflow 0
		.amdhsa_exception_fp_ieee_underflow 0
		.amdhsa_exception_fp_ieee_inexact 0
		.amdhsa_exception_int_div_zero 0
	.end_amdhsa_kernel
	.section	.text._Z17wvSplitKQ_hf_sml_I6__halfN3c1015Float8_e4m3fnuzELi64ELi4ELi16ELi16ELi1ELi4EEviiiPKT0_S5_PT_PKfS9_ii,"axG",@progbits,_Z17wvSplitKQ_hf_sml_I6__halfN3c1015Float8_e4m3fnuzELi64ELi4ELi16ELi16ELi1ELi4EEviiiPKT0_S5_PT_PKfS9_ii,comdat
.Lfunc_end48:
	.size	_Z17wvSplitKQ_hf_sml_I6__halfN3c1015Float8_e4m3fnuzELi64ELi4ELi16ELi16ELi1ELi4EEviiiPKT0_S5_PT_PKfS9_ii, .Lfunc_end48-_Z17wvSplitKQ_hf_sml_I6__halfN3c1015Float8_e4m3fnuzELi64ELi4ELi16ELi16ELi1ELi4EEviiiPKT0_S5_PT_PKfS9_ii
                                        ; -- End function
	.set _Z17wvSplitKQ_hf_sml_I6__halfN3c1015Float8_e4m3fnuzELi64ELi4ELi16ELi16ELi1ELi4EEviiiPKT0_S5_PT_PKfS9_ii.num_vgpr, max(3, .L__assert_fail.num_vgpr)
	.set _Z17wvSplitKQ_hf_sml_I6__halfN3c1015Float8_e4m3fnuzELi64ELi4ELi16ELi16ELi1ELi4EEviiiPKT0_S5_PT_PKfS9_ii.num_agpr, max(0, .L__assert_fail.num_agpr)
	.set _Z17wvSplitKQ_hf_sml_I6__halfN3c1015Float8_e4m3fnuzELi64ELi4ELi16ELi16ELi1ELi4EEviiiPKT0_S5_PT_PKfS9_ii.numbered_sgpr, max(33, .L__assert_fail.numbered_sgpr)
	.set _Z17wvSplitKQ_hf_sml_I6__halfN3c1015Float8_e4m3fnuzELi64ELi4ELi16ELi16ELi1ELi4EEviiiPKT0_S5_PT_PKfS9_ii.num_named_barrier, max(0, .L__assert_fail.num_named_barrier)
	.set _Z17wvSplitKQ_hf_sml_I6__halfN3c1015Float8_e4m3fnuzELi64ELi4ELi16ELi16ELi1ELi4EEviiiPKT0_S5_PT_PKfS9_ii.private_seg_size, 0+max(.L__assert_fail.private_seg_size)
	.set _Z17wvSplitKQ_hf_sml_I6__halfN3c1015Float8_e4m3fnuzELi64ELi4ELi16ELi16ELi1ELi4EEviiiPKT0_S5_PT_PKfS9_ii.uses_vcc, or(1, .L__assert_fail.uses_vcc)
	.set _Z17wvSplitKQ_hf_sml_I6__halfN3c1015Float8_e4m3fnuzELi64ELi4ELi16ELi16ELi1ELi4EEviiiPKT0_S5_PT_PKfS9_ii.uses_flat_scratch, or(1, .L__assert_fail.uses_flat_scratch)
	.set _Z17wvSplitKQ_hf_sml_I6__halfN3c1015Float8_e4m3fnuzELi64ELi4ELi16ELi16ELi1ELi4EEviiiPKT0_S5_PT_PKfS9_ii.has_dyn_sized_stack, or(0, .L__assert_fail.has_dyn_sized_stack)
	.set _Z17wvSplitKQ_hf_sml_I6__halfN3c1015Float8_e4m3fnuzELi64ELi4ELi16ELi16ELi1ELi4EEviiiPKT0_S5_PT_PKfS9_ii.has_recursion, or(0, .L__assert_fail.has_recursion)
	.set _Z17wvSplitKQ_hf_sml_I6__halfN3c1015Float8_e4m3fnuzELi64ELi4ELi16ELi16ELi1ELi4EEviiiPKT0_S5_PT_PKfS9_ii.has_indirect_call, or(0, .L__assert_fail.has_indirect_call)
	.section	.AMDGPU.csdata,"",@progbits
; Kernel info:
; codeLenInByte = 96
; TotalNumSgprs: 36
; NumVgprs: 41
; ScratchSize: 64
; MemoryBound: 0
; FloatMode: 240
; IeeeMode: 1
; LDSByteSize: 0 bytes/workgroup (compile time only)
; SGPRBlocks: 0
; VGPRBlocks: 5
; NumSGPRsForWavesPerEU: 36
; NumVGPRsForWavesPerEU: 41
; Occupancy: 16
; WaveLimiterHint : 1
; COMPUTE_PGM_RSRC2:SCRATCH_EN: 1
; COMPUTE_PGM_RSRC2:USER_SGPR: 8
; COMPUTE_PGM_RSRC2:TRAP_HANDLER: 0
; COMPUTE_PGM_RSRC2:TGID_X_EN: 1
; COMPUTE_PGM_RSRC2:TGID_Y_EN: 0
; COMPUTE_PGM_RSRC2:TGID_Z_EN: 0
; COMPUTE_PGM_RSRC2:TIDIG_COMP_CNT: 0
	.section	.text._Z13wvSplitKQ_hf_I6__halfN3c1015Float8_e4m3fnuzELi64ELi7ELi16ELi16ELi1ELi4EEviiiPKT0_S5_PT_PKfS9_ii,"axG",@progbits,_Z13wvSplitKQ_hf_I6__halfN3c1015Float8_e4m3fnuzELi64ELi7ELi16ELi16ELi1ELi4EEviiiPKT0_S5_PT_PKfS9_ii,comdat
	.protected	_Z13wvSplitKQ_hf_I6__halfN3c1015Float8_e4m3fnuzELi64ELi7ELi16ELi16ELi1ELi4EEviiiPKT0_S5_PT_PKfS9_ii ; -- Begin function _Z13wvSplitKQ_hf_I6__halfN3c1015Float8_e4m3fnuzELi64ELi7ELi16ELi16ELi1ELi4EEviiiPKT0_S5_PT_PKfS9_ii
	.globl	_Z13wvSplitKQ_hf_I6__halfN3c1015Float8_e4m3fnuzELi64ELi7ELi16ELi16ELi1ELi4EEviiiPKT0_S5_PT_PKfS9_ii
	.p2align	8
	.type	_Z13wvSplitKQ_hf_I6__halfN3c1015Float8_e4m3fnuzELi64ELi7ELi16ELi16ELi1ELi4EEviiiPKT0_S5_PT_PKfS9_ii,@function
_Z13wvSplitKQ_hf_I6__halfN3c1015Float8_e4m3fnuzELi64ELi7ELi16ELi16ELi1ELi4EEviiiPKT0_S5_PT_PKfS9_ii: ; @_Z13wvSplitKQ_hf_I6__halfN3c1015Float8_e4m3fnuzELi64ELi7ELi16ELi16ELi1ELi4EEviiiPKT0_S5_PT_PKfS9_ii
; %bb.0:
	s_add_u32 s6, s6, s9
	s_mov_b32 s32, 0
	s_addc_u32 s7, s7, 0
	s_setreg_b32 hwreg(HW_REG_FLAT_SCR_LO), s6
	s_setreg_b32 hwreg(HW_REG_FLAT_SCR_HI), s7
	s_add_u32 s0, s0, s9
	s_addc_u32 s1, s1, 0
	s_add_u32 s8, s4, 64
	s_addc_u32 s9, s5, 0
	s_getpc_b64 s[4:5]
	s_add_u32 s4, s4, __PRETTY_FUNCTION__._Z13wvSplitKQ_hf_I6__halfN3c1015Float8_e4m3fnuzELi64ELi7ELi16ELi16ELi1ELi4EEviiiPKT0_S5_PT_PKfS9_ii@rel32@lo+4
	s_addc_u32 s5, s5, __PRETTY_FUNCTION__._Z13wvSplitKQ_hf_I6__halfN3c1015Float8_e4m3fnuzELi64ELi7ELi16ELi16ELi1ELi4EEviiiPKT0_S5_PT_PKfS9_ii@rel32@hi+12
	v_mov_b32_e32 v0, 0x66e
	v_mov_b32_e32 v1, s4
	;; [unrolled: 1-line block ×3, first 2 shown]
	s_getpc_b64 s[6:7]
	s_add_u32 s6, s6, __assert_fail@rel32@lo+4
	s_addc_u32 s7, s7, __assert_fail@rel32@hi+12
	s_swappc_b64 s[30:31], s[6:7]
	.section	.rodata,"a",@progbits
	.p2align	6, 0x0
	.amdhsa_kernel _Z13wvSplitKQ_hf_I6__halfN3c1015Float8_e4m3fnuzELi64ELi7ELi16ELi16ELi1ELi4EEviiiPKT0_S5_PT_PKfS9_ii
		.amdhsa_group_segment_fixed_size 0
		.amdhsa_private_segment_fixed_size 64
		.amdhsa_kernarg_size 320
		.amdhsa_user_sgpr_count 8
		.amdhsa_user_sgpr_private_segment_buffer 1
		.amdhsa_user_sgpr_dispatch_ptr 0
		.amdhsa_user_sgpr_queue_ptr 0
		.amdhsa_user_sgpr_kernarg_segment_ptr 1
		.amdhsa_user_sgpr_dispatch_id 0
		.amdhsa_user_sgpr_flat_scratch_init 1
		.amdhsa_user_sgpr_private_segment_size 0
		.amdhsa_wavefront_size32 1
		.amdhsa_uses_dynamic_stack 0
		.amdhsa_system_sgpr_private_segment_wavefront_offset 1
		.amdhsa_system_sgpr_workgroup_id_x 1
		.amdhsa_system_sgpr_workgroup_id_y 0
		.amdhsa_system_sgpr_workgroup_id_z 0
		.amdhsa_system_sgpr_workgroup_info 0
		.amdhsa_system_vgpr_workitem_id 0
		.amdhsa_next_free_vgpr 41
		.amdhsa_next_free_sgpr 34
		.amdhsa_reserve_vcc 1
		.amdhsa_reserve_flat_scratch 1
		.amdhsa_float_round_mode_32 0
		.amdhsa_float_round_mode_16_64 0
		.amdhsa_float_denorm_mode_32 3
		.amdhsa_float_denorm_mode_16_64 3
		.amdhsa_dx10_clamp 1
		.amdhsa_ieee_mode 1
		.amdhsa_fp16_overflow 0
		.amdhsa_workgroup_processor_mode 1
		.amdhsa_memory_ordered 1
		.amdhsa_forward_progress 1
		.amdhsa_shared_vgpr_count 0
		.amdhsa_exception_fp_ieee_invalid_op 0
		.amdhsa_exception_fp_denorm_src 0
		.amdhsa_exception_fp_ieee_div_zero 0
		.amdhsa_exception_fp_ieee_overflow 0
		.amdhsa_exception_fp_ieee_underflow 0
		.amdhsa_exception_fp_ieee_inexact 0
		.amdhsa_exception_int_div_zero 0
	.end_amdhsa_kernel
	.section	.text._Z13wvSplitKQ_hf_I6__halfN3c1015Float8_e4m3fnuzELi64ELi7ELi16ELi16ELi1ELi4EEviiiPKT0_S5_PT_PKfS9_ii,"axG",@progbits,_Z13wvSplitKQ_hf_I6__halfN3c1015Float8_e4m3fnuzELi64ELi7ELi16ELi16ELi1ELi4EEviiiPKT0_S5_PT_PKfS9_ii,comdat
.Lfunc_end49:
	.size	_Z13wvSplitKQ_hf_I6__halfN3c1015Float8_e4m3fnuzELi64ELi7ELi16ELi16ELi1ELi4EEviiiPKT0_S5_PT_PKfS9_ii, .Lfunc_end49-_Z13wvSplitKQ_hf_I6__halfN3c1015Float8_e4m3fnuzELi64ELi7ELi16ELi16ELi1ELi4EEviiiPKT0_S5_PT_PKfS9_ii
                                        ; -- End function
	.set _Z13wvSplitKQ_hf_I6__halfN3c1015Float8_e4m3fnuzELi64ELi7ELi16ELi16ELi1ELi4EEviiiPKT0_S5_PT_PKfS9_ii.num_vgpr, max(3, .L__assert_fail.num_vgpr)
	.set _Z13wvSplitKQ_hf_I6__halfN3c1015Float8_e4m3fnuzELi64ELi7ELi16ELi16ELi1ELi4EEviiiPKT0_S5_PT_PKfS9_ii.num_agpr, max(0, .L__assert_fail.num_agpr)
	.set _Z13wvSplitKQ_hf_I6__halfN3c1015Float8_e4m3fnuzELi64ELi7ELi16ELi16ELi1ELi4EEviiiPKT0_S5_PT_PKfS9_ii.numbered_sgpr, max(33, .L__assert_fail.numbered_sgpr)
	.set _Z13wvSplitKQ_hf_I6__halfN3c1015Float8_e4m3fnuzELi64ELi7ELi16ELi16ELi1ELi4EEviiiPKT0_S5_PT_PKfS9_ii.num_named_barrier, max(0, .L__assert_fail.num_named_barrier)
	.set _Z13wvSplitKQ_hf_I6__halfN3c1015Float8_e4m3fnuzELi64ELi7ELi16ELi16ELi1ELi4EEviiiPKT0_S5_PT_PKfS9_ii.private_seg_size, 0+max(.L__assert_fail.private_seg_size)
	.set _Z13wvSplitKQ_hf_I6__halfN3c1015Float8_e4m3fnuzELi64ELi7ELi16ELi16ELi1ELi4EEviiiPKT0_S5_PT_PKfS9_ii.uses_vcc, or(1, .L__assert_fail.uses_vcc)
	.set _Z13wvSplitKQ_hf_I6__halfN3c1015Float8_e4m3fnuzELi64ELi7ELi16ELi16ELi1ELi4EEviiiPKT0_S5_PT_PKfS9_ii.uses_flat_scratch, or(1, .L__assert_fail.uses_flat_scratch)
	.set _Z13wvSplitKQ_hf_I6__halfN3c1015Float8_e4m3fnuzELi64ELi7ELi16ELi16ELi1ELi4EEviiiPKT0_S5_PT_PKfS9_ii.has_dyn_sized_stack, or(0, .L__assert_fail.has_dyn_sized_stack)
	.set _Z13wvSplitKQ_hf_I6__halfN3c1015Float8_e4m3fnuzELi64ELi7ELi16ELi16ELi1ELi4EEviiiPKT0_S5_PT_PKfS9_ii.has_recursion, or(0, .L__assert_fail.has_recursion)
	.set _Z13wvSplitKQ_hf_I6__halfN3c1015Float8_e4m3fnuzELi64ELi7ELi16ELi16ELi1ELi4EEviiiPKT0_S5_PT_PKfS9_ii.has_indirect_call, or(0, .L__assert_fail.has_indirect_call)
	.section	.AMDGPU.csdata,"",@progbits
; Kernel info:
; codeLenInByte = 96
; TotalNumSgprs: 36
; NumVgprs: 41
; ScratchSize: 64
; MemoryBound: 0
; FloatMode: 240
; IeeeMode: 1
; LDSByteSize: 0 bytes/workgroup (compile time only)
; SGPRBlocks: 0
; VGPRBlocks: 5
; NumSGPRsForWavesPerEU: 36
; NumVGPRsForWavesPerEU: 41
; Occupancy: 16
; WaveLimiterHint : 1
; COMPUTE_PGM_RSRC2:SCRATCH_EN: 1
; COMPUTE_PGM_RSRC2:USER_SGPR: 8
; COMPUTE_PGM_RSRC2:TRAP_HANDLER: 0
; COMPUTE_PGM_RSRC2:TGID_X_EN: 1
; COMPUTE_PGM_RSRC2:TGID_Y_EN: 0
; COMPUTE_PGM_RSRC2:TGID_Z_EN: 0
; COMPUTE_PGM_RSRC2:TIDIG_COMP_CNT: 0
	.section	.text._Z17wvSplitKQ_hf_sml_I14__hip_bfloat16N3c1013Float8_e4m3fnELi64ELi2ELi16ELi16ELi2ELi1EEviiiPKT0_S5_PT_PKfS9_ii,"axG",@progbits,_Z17wvSplitKQ_hf_sml_I14__hip_bfloat16N3c1013Float8_e4m3fnELi64ELi2ELi16ELi16ELi2ELi1EEviiiPKT0_S5_PT_PKfS9_ii,comdat
	.protected	_Z17wvSplitKQ_hf_sml_I14__hip_bfloat16N3c1013Float8_e4m3fnELi64ELi2ELi16ELi16ELi2ELi1EEviiiPKT0_S5_PT_PKfS9_ii ; -- Begin function _Z17wvSplitKQ_hf_sml_I14__hip_bfloat16N3c1013Float8_e4m3fnELi64ELi2ELi16ELi16ELi2ELi1EEviiiPKT0_S5_PT_PKfS9_ii
	.globl	_Z17wvSplitKQ_hf_sml_I14__hip_bfloat16N3c1013Float8_e4m3fnELi64ELi2ELi16ELi16ELi2ELi1EEviiiPKT0_S5_PT_PKfS9_ii
	.p2align	8
	.type	_Z17wvSplitKQ_hf_sml_I14__hip_bfloat16N3c1013Float8_e4m3fnELi64ELi2ELi16ELi16ELi2ELi1EEviiiPKT0_S5_PT_PKfS9_ii,@function
_Z17wvSplitKQ_hf_sml_I14__hip_bfloat16N3c1013Float8_e4m3fnELi64ELi2ELi16ELi16ELi2ELi1EEviiiPKT0_S5_PT_PKfS9_ii: ; @_Z17wvSplitKQ_hf_sml_I14__hip_bfloat16N3c1013Float8_e4m3fnELi64ELi2ELi16ELi16ELi2ELi1EEviiiPKT0_S5_PT_PKfS9_ii
; %bb.0:
	s_add_u32 s6, s6, s9
	s_mov_b32 s32, 0
	s_addc_u32 s7, s7, 0
	s_setreg_b32 hwreg(HW_REG_FLAT_SCR_LO), s6
	s_setreg_b32 hwreg(HW_REG_FLAT_SCR_HI), s7
	s_add_u32 s0, s0, s9
	s_addc_u32 s1, s1, 0
	s_add_u32 s8, s4, 64
	s_addc_u32 s9, s5, 0
	s_getpc_b64 s[4:5]
	s_add_u32 s4, s4, __PRETTY_FUNCTION__._Z17wvSplitKQ_hf_sml_I14__hip_bfloat16N3c1013Float8_e4m3fnELi64ELi2ELi16ELi16ELi2ELi1EEviiiPKT0_S5_PT_PKfS9_ii@rel32@lo+4
	s_addc_u32 s5, s5, __PRETTY_FUNCTION__._Z17wvSplitKQ_hf_sml_I14__hip_bfloat16N3c1013Float8_e4m3fnELi64ELi2ELi16ELi16ELi2ELi1EEviiiPKT0_S5_PT_PKfS9_ii@rel32@hi+12
	v_mov_b32_e32 v0, 0x5c1
	v_mov_b32_e32 v1, s4
	;; [unrolled: 1-line block ×3, first 2 shown]
	s_getpc_b64 s[6:7]
	s_add_u32 s6, s6, __assert_fail@rel32@lo+4
	s_addc_u32 s7, s7, __assert_fail@rel32@hi+12
	s_swappc_b64 s[30:31], s[6:7]
	.section	.rodata,"a",@progbits
	.p2align	6, 0x0
	.amdhsa_kernel _Z17wvSplitKQ_hf_sml_I14__hip_bfloat16N3c1013Float8_e4m3fnELi64ELi2ELi16ELi16ELi2ELi1EEviiiPKT0_S5_PT_PKfS9_ii
		.amdhsa_group_segment_fixed_size 0
		.amdhsa_private_segment_fixed_size 64
		.amdhsa_kernarg_size 320
		.amdhsa_user_sgpr_count 8
		.amdhsa_user_sgpr_private_segment_buffer 1
		.amdhsa_user_sgpr_dispatch_ptr 0
		.amdhsa_user_sgpr_queue_ptr 0
		.amdhsa_user_sgpr_kernarg_segment_ptr 1
		.amdhsa_user_sgpr_dispatch_id 0
		.amdhsa_user_sgpr_flat_scratch_init 1
		.amdhsa_user_sgpr_private_segment_size 0
		.amdhsa_wavefront_size32 1
		.amdhsa_uses_dynamic_stack 0
		.amdhsa_system_sgpr_private_segment_wavefront_offset 1
		.amdhsa_system_sgpr_workgroup_id_x 1
		.amdhsa_system_sgpr_workgroup_id_y 0
		.amdhsa_system_sgpr_workgroup_id_z 0
		.amdhsa_system_sgpr_workgroup_info 0
		.amdhsa_system_vgpr_workitem_id 0
		.amdhsa_next_free_vgpr 41
		.amdhsa_next_free_sgpr 34
		.amdhsa_reserve_vcc 1
		.amdhsa_reserve_flat_scratch 1
		.amdhsa_float_round_mode_32 0
		.amdhsa_float_round_mode_16_64 0
		.amdhsa_float_denorm_mode_32 3
		.amdhsa_float_denorm_mode_16_64 3
		.amdhsa_dx10_clamp 1
		.amdhsa_ieee_mode 1
		.amdhsa_fp16_overflow 0
		.amdhsa_workgroup_processor_mode 1
		.amdhsa_memory_ordered 1
		.amdhsa_forward_progress 1
		.amdhsa_shared_vgpr_count 0
		.amdhsa_exception_fp_ieee_invalid_op 0
		.amdhsa_exception_fp_denorm_src 0
		.amdhsa_exception_fp_ieee_div_zero 0
		.amdhsa_exception_fp_ieee_overflow 0
		.amdhsa_exception_fp_ieee_underflow 0
		.amdhsa_exception_fp_ieee_inexact 0
		.amdhsa_exception_int_div_zero 0
	.end_amdhsa_kernel
	.section	.text._Z17wvSplitKQ_hf_sml_I14__hip_bfloat16N3c1013Float8_e4m3fnELi64ELi2ELi16ELi16ELi2ELi1EEviiiPKT0_S5_PT_PKfS9_ii,"axG",@progbits,_Z17wvSplitKQ_hf_sml_I14__hip_bfloat16N3c1013Float8_e4m3fnELi64ELi2ELi16ELi16ELi2ELi1EEviiiPKT0_S5_PT_PKfS9_ii,comdat
.Lfunc_end50:
	.size	_Z17wvSplitKQ_hf_sml_I14__hip_bfloat16N3c1013Float8_e4m3fnELi64ELi2ELi16ELi16ELi2ELi1EEviiiPKT0_S5_PT_PKfS9_ii, .Lfunc_end50-_Z17wvSplitKQ_hf_sml_I14__hip_bfloat16N3c1013Float8_e4m3fnELi64ELi2ELi16ELi16ELi2ELi1EEviiiPKT0_S5_PT_PKfS9_ii
                                        ; -- End function
	.set _Z17wvSplitKQ_hf_sml_I14__hip_bfloat16N3c1013Float8_e4m3fnELi64ELi2ELi16ELi16ELi2ELi1EEviiiPKT0_S5_PT_PKfS9_ii.num_vgpr, max(3, .L__assert_fail.num_vgpr)
	.set _Z17wvSplitKQ_hf_sml_I14__hip_bfloat16N3c1013Float8_e4m3fnELi64ELi2ELi16ELi16ELi2ELi1EEviiiPKT0_S5_PT_PKfS9_ii.num_agpr, max(0, .L__assert_fail.num_agpr)
	.set _Z17wvSplitKQ_hf_sml_I14__hip_bfloat16N3c1013Float8_e4m3fnELi64ELi2ELi16ELi16ELi2ELi1EEviiiPKT0_S5_PT_PKfS9_ii.numbered_sgpr, max(33, .L__assert_fail.numbered_sgpr)
	.set _Z17wvSplitKQ_hf_sml_I14__hip_bfloat16N3c1013Float8_e4m3fnELi64ELi2ELi16ELi16ELi2ELi1EEviiiPKT0_S5_PT_PKfS9_ii.num_named_barrier, max(0, .L__assert_fail.num_named_barrier)
	.set _Z17wvSplitKQ_hf_sml_I14__hip_bfloat16N3c1013Float8_e4m3fnELi64ELi2ELi16ELi16ELi2ELi1EEviiiPKT0_S5_PT_PKfS9_ii.private_seg_size, 0+max(.L__assert_fail.private_seg_size)
	.set _Z17wvSplitKQ_hf_sml_I14__hip_bfloat16N3c1013Float8_e4m3fnELi64ELi2ELi16ELi16ELi2ELi1EEviiiPKT0_S5_PT_PKfS9_ii.uses_vcc, or(1, .L__assert_fail.uses_vcc)
	.set _Z17wvSplitKQ_hf_sml_I14__hip_bfloat16N3c1013Float8_e4m3fnELi64ELi2ELi16ELi16ELi2ELi1EEviiiPKT0_S5_PT_PKfS9_ii.uses_flat_scratch, or(1, .L__assert_fail.uses_flat_scratch)
	.set _Z17wvSplitKQ_hf_sml_I14__hip_bfloat16N3c1013Float8_e4m3fnELi64ELi2ELi16ELi16ELi2ELi1EEviiiPKT0_S5_PT_PKfS9_ii.has_dyn_sized_stack, or(0, .L__assert_fail.has_dyn_sized_stack)
	.set _Z17wvSplitKQ_hf_sml_I14__hip_bfloat16N3c1013Float8_e4m3fnELi64ELi2ELi16ELi16ELi2ELi1EEviiiPKT0_S5_PT_PKfS9_ii.has_recursion, or(0, .L__assert_fail.has_recursion)
	.set _Z17wvSplitKQ_hf_sml_I14__hip_bfloat16N3c1013Float8_e4m3fnELi64ELi2ELi16ELi16ELi2ELi1EEviiiPKT0_S5_PT_PKfS9_ii.has_indirect_call, or(0, .L__assert_fail.has_indirect_call)
	.section	.AMDGPU.csdata,"",@progbits
; Kernel info:
; codeLenInByte = 96
; TotalNumSgprs: 36
; NumVgprs: 41
; ScratchSize: 64
; MemoryBound: 0
; FloatMode: 240
; IeeeMode: 1
; LDSByteSize: 0 bytes/workgroup (compile time only)
; SGPRBlocks: 0
; VGPRBlocks: 5
; NumSGPRsForWavesPerEU: 36
; NumVGPRsForWavesPerEU: 41
; Occupancy: 16
; WaveLimiterHint : 1
; COMPUTE_PGM_RSRC2:SCRATCH_EN: 1
; COMPUTE_PGM_RSRC2:USER_SGPR: 8
; COMPUTE_PGM_RSRC2:TRAP_HANDLER: 0
; COMPUTE_PGM_RSRC2:TGID_X_EN: 1
; COMPUTE_PGM_RSRC2:TGID_Y_EN: 0
; COMPUTE_PGM_RSRC2:TGID_Z_EN: 0
; COMPUTE_PGM_RSRC2:TIDIG_COMP_CNT: 0
	.section	.text._Z13wvSplitKQ_hf_I14__hip_bfloat16N3c1013Float8_e4m3fnELi64ELi2ELi16ELi16ELi2ELi1EEviiiPKT0_S5_PT_PKfS9_ii,"axG",@progbits,_Z13wvSplitKQ_hf_I14__hip_bfloat16N3c1013Float8_e4m3fnELi64ELi2ELi16ELi16ELi2ELi1EEviiiPKT0_S5_PT_PKfS9_ii,comdat
	.protected	_Z13wvSplitKQ_hf_I14__hip_bfloat16N3c1013Float8_e4m3fnELi64ELi2ELi16ELi16ELi2ELi1EEviiiPKT0_S5_PT_PKfS9_ii ; -- Begin function _Z13wvSplitKQ_hf_I14__hip_bfloat16N3c1013Float8_e4m3fnELi64ELi2ELi16ELi16ELi2ELi1EEviiiPKT0_S5_PT_PKfS9_ii
	.globl	_Z13wvSplitKQ_hf_I14__hip_bfloat16N3c1013Float8_e4m3fnELi64ELi2ELi16ELi16ELi2ELi1EEviiiPKT0_S5_PT_PKfS9_ii
	.p2align	8
	.type	_Z13wvSplitKQ_hf_I14__hip_bfloat16N3c1013Float8_e4m3fnELi64ELi2ELi16ELi16ELi2ELi1EEviiiPKT0_S5_PT_PKfS9_ii,@function
_Z13wvSplitKQ_hf_I14__hip_bfloat16N3c1013Float8_e4m3fnELi64ELi2ELi16ELi16ELi2ELi1EEviiiPKT0_S5_PT_PKfS9_ii: ; @_Z13wvSplitKQ_hf_I14__hip_bfloat16N3c1013Float8_e4m3fnELi64ELi2ELi16ELi16ELi2ELi1EEviiiPKT0_S5_PT_PKfS9_ii
; %bb.0:
	s_add_u32 s6, s6, s9
	s_mov_b32 s32, 0
	s_addc_u32 s7, s7, 0
	s_setreg_b32 hwreg(HW_REG_FLAT_SCR_LO), s6
	s_setreg_b32 hwreg(HW_REG_FLAT_SCR_HI), s7
	s_add_u32 s0, s0, s9
	s_addc_u32 s1, s1, 0
	s_add_u32 s8, s4, 64
	s_addc_u32 s9, s5, 0
	s_getpc_b64 s[4:5]
	s_add_u32 s4, s4, __PRETTY_FUNCTION__._Z13wvSplitKQ_hf_I14__hip_bfloat16N3c1013Float8_e4m3fnELi64ELi2ELi16ELi16ELi2ELi1EEviiiPKT0_S5_PT_PKfS9_ii@rel32@lo+4
	s_addc_u32 s5, s5, __PRETTY_FUNCTION__._Z13wvSplitKQ_hf_I14__hip_bfloat16N3c1013Float8_e4m3fnELi64ELi2ELi16ELi16ELi2ELi1EEviiiPKT0_S5_PT_PKfS9_ii@rel32@hi+12
	v_mov_b32_e32 v0, 0x66e
	v_mov_b32_e32 v1, s4
	v_mov_b32_e32 v2, s5
	s_getpc_b64 s[6:7]
	s_add_u32 s6, s6, __assert_fail@rel32@lo+4
	s_addc_u32 s7, s7, __assert_fail@rel32@hi+12
	s_swappc_b64 s[30:31], s[6:7]
	.section	.rodata,"a",@progbits
	.p2align	6, 0x0
	.amdhsa_kernel _Z13wvSplitKQ_hf_I14__hip_bfloat16N3c1013Float8_e4m3fnELi64ELi2ELi16ELi16ELi2ELi1EEviiiPKT0_S5_PT_PKfS9_ii
		.amdhsa_group_segment_fixed_size 0
		.amdhsa_private_segment_fixed_size 64
		.amdhsa_kernarg_size 320
		.amdhsa_user_sgpr_count 8
		.amdhsa_user_sgpr_private_segment_buffer 1
		.amdhsa_user_sgpr_dispatch_ptr 0
		.amdhsa_user_sgpr_queue_ptr 0
		.amdhsa_user_sgpr_kernarg_segment_ptr 1
		.amdhsa_user_sgpr_dispatch_id 0
		.amdhsa_user_sgpr_flat_scratch_init 1
		.amdhsa_user_sgpr_private_segment_size 0
		.amdhsa_wavefront_size32 1
		.amdhsa_uses_dynamic_stack 0
		.amdhsa_system_sgpr_private_segment_wavefront_offset 1
		.amdhsa_system_sgpr_workgroup_id_x 1
		.amdhsa_system_sgpr_workgroup_id_y 0
		.amdhsa_system_sgpr_workgroup_id_z 0
		.amdhsa_system_sgpr_workgroup_info 0
		.amdhsa_system_vgpr_workitem_id 0
		.amdhsa_next_free_vgpr 41
		.amdhsa_next_free_sgpr 34
		.amdhsa_reserve_vcc 1
		.amdhsa_reserve_flat_scratch 1
		.amdhsa_float_round_mode_32 0
		.amdhsa_float_round_mode_16_64 0
		.amdhsa_float_denorm_mode_32 3
		.amdhsa_float_denorm_mode_16_64 3
		.amdhsa_dx10_clamp 1
		.amdhsa_ieee_mode 1
		.amdhsa_fp16_overflow 0
		.amdhsa_workgroup_processor_mode 1
		.amdhsa_memory_ordered 1
		.amdhsa_forward_progress 1
		.amdhsa_shared_vgpr_count 0
		.amdhsa_exception_fp_ieee_invalid_op 0
		.amdhsa_exception_fp_denorm_src 0
		.amdhsa_exception_fp_ieee_div_zero 0
		.amdhsa_exception_fp_ieee_overflow 0
		.amdhsa_exception_fp_ieee_underflow 0
		.amdhsa_exception_fp_ieee_inexact 0
		.amdhsa_exception_int_div_zero 0
	.end_amdhsa_kernel
	.section	.text._Z13wvSplitKQ_hf_I14__hip_bfloat16N3c1013Float8_e4m3fnELi64ELi2ELi16ELi16ELi2ELi1EEviiiPKT0_S5_PT_PKfS9_ii,"axG",@progbits,_Z13wvSplitKQ_hf_I14__hip_bfloat16N3c1013Float8_e4m3fnELi64ELi2ELi16ELi16ELi2ELi1EEviiiPKT0_S5_PT_PKfS9_ii,comdat
.Lfunc_end51:
	.size	_Z13wvSplitKQ_hf_I14__hip_bfloat16N3c1013Float8_e4m3fnELi64ELi2ELi16ELi16ELi2ELi1EEviiiPKT0_S5_PT_PKfS9_ii, .Lfunc_end51-_Z13wvSplitKQ_hf_I14__hip_bfloat16N3c1013Float8_e4m3fnELi64ELi2ELi16ELi16ELi2ELi1EEviiiPKT0_S5_PT_PKfS9_ii
                                        ; -- End function
	.set _Z13wvSplitKQ_hf_I14__hip_bfloat16N3c1013Float8_e4m3fnELi64ELi2ELi16ELi16ELi2ELi1EEviiiPKT0_S5_PT_PKfS9_ii.num_vgpr, max(3, .L__assert_fail.num_vgpr)
	.set _Z13wvSplitKQ_hf_I14__hip_bfloat16N3c1013Float8_e4m3fnELi64ELi2ELi16ELi16ELi2ELi1EEviiiPKT0_S5_PT_PKfS9_ii.num_agpr, max(0, .L__assert_fail.num_agpr)
	.set _Z13wvSplitKQ_hf_I14__hip_bfloat16N3c1013Float8_e4m3fnELi64ELi2ELi16ELi16ELi2ELi1EEviiiPKT0_S5_PT_PKfS9_ii.numbered_sgpr, max(33, .L__assert_fail.numbered_sgpr)
	.set _Z13wvSplitKQ_hf_I14__hip_bfloat16N3c1013Float8_e4m3fnELi64ELi2ELi16ELi16ELi2ELi1EEviiiPKT0_S5_PT_PKfS9_ii.num_named_barrier, max(0, .L__assert_fail.num_named_barrier)
	.set _Z13wvSplitKQ_hf_I14__hip_bfloat16N3c1013Float8_e4m3fnELi64ELi2ELi16ELi16ELi2ELi1EEviiiPKT0_S5_PT_PKfS9_ii.private_seg_size, 0+max(.L__assert_fail.private_seg_size)
	.set _Z13wvSplitKQ_hf_I14__hip_bfloat16N3c1013Float8_e4m3fnELi64ELi2ELi16ELi16ELi2ELi1EEviiiPKT0_S5_PT_PKfS9_ii.uses_vcc, or(1, .L__assert_fail.uses_vcc)
	.set _Z13wvSplitKQ_hf_I14__hip_bfloat16N3c1013Float8_e4m3fnELi64ELi2ELi16ELi16ELi2ELi1EEviiiPKT0_S5_PT_PKfS9_ii.uses_flat_scratch, or(1, .L__assert_fail.uses_flat_scratch)
	.set _Z13wvSplitKQ_hf_I14__hip_bfloat16N3c1013Float8_e4m3fnELi64ELi2ELi16ELi16ELi2ELi1EEviiiPKT0_S5_PT_PKfS9_ii.has_dyn_sized_stack, or(0, .L__assert_fail.has_dyn_sized_stack)
	.set _Z13wvSplitKQ_hf_I14__hip_bfloat16N3c1013Float8_e4m3fnELi64ELi2ELi16ELi16ELi2ELi1EEviiiPKT0_S5_PT_PKfS9_ii.has_recursion, or(0, .L__assert_fail.has_recursion)
	.set _Z13wvSplitKQ_hf_I14__hip_bfloat16N3c1013Float8_e4m3fnELi64ELi2ELi16ELi16ELi2ELi1EEviiiPKT0_S5_PT_PKfS9_ii.has_indirect_call, or(0, .L__assert_fail.has_indirect_call)
	.section	.AMDGPU.csdata,"",@progbits
; Kernel info:
; codeLenInByte = 96
; TotalNumSgprs: 36
; NumVgprs: 41
; ScratchSize: 64
; MemoryBound: 0
; FloatMode: 240
; IeeeMode: 1
; LDSByteSize: 0 bytes/workgroup (compile time only)
; SGPRBlocks: 0
; VGPRBlocks: 5
; NumSGPRsForWavesPerEU: 36
; NumVGPRsForWavesPerEU: 41
; Occupancy: 16
; WaveLimiterHint : 1
; COMPUTE_PGM_RSRC2:SCRATCH_EN: 1
; COMPUTE_PGM_RSRC2:USER_SGPR: 8
; COMPUTE_PGM_RSRC2:TRAP_HANDLER: 0
; COMPUTE_PGM_RSRC2:TGID_X_EN: 1
; COMPUTE_PGM_RSRC2:TGID_Y_EN: 0
; COMPUTE_PGM_RSRC2:TGID_Z_EN: 0
; COMPUTE_PGM_RSRC2:TIDIG_COMP_CNT: 0
	.section	.text._Z17wvSplitKQ_hf_sml_I14__hip_bfloat16N3c1013Float8_e4m3fnELi64ELi2ELi16ELi16ELi2ELi2EEviiiPKT0_S5_PT_PKfS9_ii,"axG",@progbits,_Z17wvSplitKQ_hf_sml_I14__hip_bfloat16N3c1013Float8_e4m3fnELi64ELi2ELi16ELi16ELi2ELi2EEviiiPKT0_S5_PT_PKfS9_ii,comdat
	.protected	_Z17wvSplitKQ_hf_sml_I14__hip_bfloat16N3c1013Float8_e4m3fnELi64ELi2ELi16ELi16ELi2ELi2EEviiiPKT0_S5_PT_PKfS9_ii ; -- Begin function _Z17wvSplitKQ_hf_sml_I14__hip_bfloat16N3c1013Float8_e4m3fnELi64ELi2ELi16ELi16ELi2ELi2EEviiiPKT0_S5_PT_PKfS9_ii
	.globl	_Z17wvSplitKQ_hf_sml_I14__hip_bfloat16N3c1013Float8_e4m3fnELi64ELi2ELi16ELi16ELi2ELi2EEviiiPKT0_S5_PT_PKfS9_ii
	.p2align	8
	.type	_Z17wvSplitKQ_hf_sml_I14__hip_bfloat16N3c1013Float8_e4m3fnELi64ELi2ELi16ELi16ELi2ELi2EEviiiPKT0_S5_PT_PKfS9_ii,@function
_Z17wvSplitKQ_hf_sml_I14__hip_bfloat16N3c1013Float8_e4m3fnELi64ELi2ELi16ELi16ELi2ELi2EEviiiPKT0_S5_PT_PKfS9_ii: ; @_Z17wvSplitKQ_hf_sml_I14__hip_bfloat16N3c1013Float8_e4m3fnELi64ELi2ELi16ELi16ELi2ELi2EEviiiPKT0_S5_PT_PKfS9_ii
; %bb.0:
	s_add_u32 s6, s6, s9
	s_mov_b32 s32, 0
	s_addc_u32 s7, s7, 0
	s_setreg_b32 hwreg(HW_REG_FLAT_SCR_LO), s6
	s_setreg_b32 hwreg(HW_REG_FLAT_SCR_HI), s7
	s_add_u32 s0, s0, s9
	s_addc_u32 s1, s1, 0
	s_add_u32 s8, s4, 64
	s_addc_u32 s9, s5, 0
	s_getpc_b64 s[4:5]
	s_add_u32 s4, s4, __PRETTY_FUNCTION__._Z17wvSplitKQ_hf_sml_I14__hip_bfloat16N3c1013Float8_e4m3fnELi64ELi2ELi16ELi16ELi2ELi2EEviiiPKT0_S5_PT_PKfS9_ii@rel32@lo+4
	s_addc_u32 s5, s5, __PRETTY_FUNCTION__._Z17wvSplitKQ_hf_sml_I14__hip_bfloat16N3c1013Float8_e4m3fnELi64ELi2ELi16ELi16ELi2ELi2EEviiiPKT0_S5_PT_PKfS9_ii@rel32@hi+12
	v_mov_b32_e32 v0, 0x5c1
	v_mov_b32_e32 v1, s4
	;; [unrolled: 1-line block ×3, first 2 shown]
	s_getpc_b64 s[6:7]
	s_add_u32 s6, s6, __assert_fail@rel32@lo+4
	s_addc_u32 s7, s7, __assert_fail@rel32@hi+12
	s_swappc_b64 s[30:31], s[6:7]
	.section	.rodata,"a",@progbits
	.p2align	6, 0x0
	.amdhsa_kernel _Z17wvSplitKQ_hf_sml_I14__hip_bfloat16N3c1013Float8_e4m3fnELi64ELi2ELi16ELi16ELi2ELi2EEviiiPKT0_S5_PT_PKfS9_ii
		.amdhsa_group_segment_fixed_size 0
		.amdhsa_private_segment_fixed_size 64
		.amdhsa_kernarg_size 320
		.amdhsa_user_sgpr_count 8
		.amdhsa_user_sgpr_private_segment_buffer 1
		.amdhsa_user_sgpr_dispatch_ptr 0
		.amdhsa_user_sgpr_queue_ptr 0
		.amdhsa_user_sgpr_kernarg_segment_ptr 1
		.amdhsa_user_sgpr_dispatch_id 0
		.amdhsa_user_sgpr_flat_scratch_init 1
		.amdhsa_user_sgpr_private_segment_size 0
		.amdhsa_wavefront_size32 1
		.amdhsa_uses_dynamic_stack 0
		.amdhsa_system_sgpr_private_segment_wavefront_offset 1
		.amdhsa_system_sgpr_workgroup_id_x 1
		.amdhsa_system_sgpr_workgroup_id_y 0
		.amdhsa_system_sgpr_workgroup_id_z 0
		.amdhsa_system_sgpr_workgroup_info 0
		.amdhsa_system_vgpr_workitem_id 0
		.amdhsa_next_free_vgpr 41
		.amdhsa_next_free_sgpr 34
		.amdhsa_reserve_vcc 1
		.amdhsa_reserve_flat_scratch 1
		.amdhsa_float_round_mode_32 0
		.amdhsa_float_round_mode_16_64 0
		.amdhsa_float_denorm_mode_32 3
		.amdhsa_float_denorm_mode_16_64 3
		.amdhsa_dx10_clamp 1
		.amdhsa_ieee_mode 1
		.amdhsa_fp16_overflow 0
		.amdhsa_workgroup_processor_mode 1
		.amdhsa_memory_ordered 1
		.amdhsa_forward_progress 1
		.amdhsa_shared_vgpr_count 0
		.amdhsa_exception_fp_ieee_invalid_op 0
		.amdhsa_exception_fp_denorm_src 0
		.amdhsa_exception_fp_ieee_div_zero 0
		.amdhsa_exception_fp_ieee_overflow 0
		.amdhsa_exception_fp_ieee_underflow 0
		.amdhsa_exception_fp_ieee_inexact 0
		.amdhsa_exception_int_div_zero 0
	.end_amdhsa_kernel
	.section	.text._Z17wvSplitKQ_hf_sml_I14__hip_bfloat16N3c1013Float8_e4m3fnELi64ELi2ELi16ELi16ELi2ELi2EEviiiPKT0_S5_PT_PKfS9_ii,"axG",@progbits,_Z17wvSplitKQ_hf_sml_I14__hip_bfloat16N3c1013Float8_e4m3fnELi64ELi2ELi16ELi16ELi2ELi2EEviiiPKT0_S5_PT_PKfS9_ii,comdat
.Lfunc_end52:
	.size	_Z17wvSplitKQ_hf_sml_I14__hip_bfloat16N3c1013Float8_e4m3fnELi64ELi2ELi16ELi16ELi2ELi2EEviiiPKT0_S5_PT_PKfS9_ii, .Lfunc_end52-_Z17wvSplitKQ_hf_sml_I14__hip_bfloat16N3c1013Float8_e4m3fnELi64ELi2ELi16ELi16ELi2ELi2EEviiiPKT0_S5_PT_PKfS9_ii
                                        ; -- End function
	.set _Z17wvSplitKQ_hf_sml_I14__hip_bfloat16N3c1013Float8_e4m3fnELi64ELi2ELi16ELi16ELi2ELi2EEviiiPKT0_S5_PT_PKfS9_ii.num_vgpr, max(3, .L__assert_fail.num_vgpr)
	.set _Z17wvSplitKQ_hf_sml_I14__hip_bfloat16N3c1013Float8_e4m3fnELi64ELi2ELi16ELi16ELi2ELi2EEviiiPKT0_S5_PT_PKfS9_ii.num_agpr, max(0, .L__assert_fail.num_agpr)
	.set _Z17wvSplitKQ_hf_sml_I14__hip_bfloat16N3c1013Float8_e4m3fnELi64ELi2ELi16ELi16ELi2ELi2EEviiiPKT0_S5_PT_PKfS9_ii.numbered_sgpr, max(33, .L__assert_fail.numbered_sgpr)
	.set _Z17wvSplitKQ_hf_sml_I14__hip_bfloat16N3c1013Float8_e4m3fnELi64ELi2ELi16ELi16ELi2ELi2EEviiiPKT0_S5_PT_PKfS9_ii.num_named_barrier, max(0, .L__assert_fail.num_named_barrier)
	.set _Z17wvSplitKQ_hf_sml_I14__hip_bfloat16N3c1013Float8_e4m3fnELi64ELi2ELi16ELi16ELi2ELi2EEviiiPKT0_S5_PT_PKfS9_ii.private_seg_size, 0+max(.L__assert_fail.private_seg_size)
	.set _Z17wvSplitKQ_hf_sml_I14__hip_bfloat16N3c1013Float8_e4m3fnELi64ELi2ELi16ELi16ELi2ELi2EEviiiPKT0_S5_PT_PKfS9_ii.uses_vcc, or(1, .L__assert_fail.uses_vcc)
	.set _Z17wvSplitKQ_hf_sml_I14__hip_bfloat16N3c1013Float8_e4m3fnELi64ELi2ELi16ELi16ELi2ELi2EEviiiPKT0_S5_PT_PKfS9_ii.uses_flat_scratch, or(1, .L__assert_fail.uses_flat_scratch)
	.set _Z17wvSplitKQ_hf_sml_I14__hip_bfloat16N3c1013Float8_e4m3fnELi64ELi2ELi16ELi16ELi2ELi2EEviiiPKT0_S5_PT_PKfS9_ii.has_dyn_sized_stack, or(0, .L__assert_fail.has_dyn_sized_stack)
	.set _Z17wvSplitKQ_hf_sml_I14__hip_bfloat16N3c1013Float8_e4m3fnELi64ELi2ELi16ELi16ELi2ELi2EEviiiPKT0_S5_PT_PKfS9_ii.has_recursion, or(0, .L__assert_fail.has_recursion)
	.set _Z17wvSplitKQ_hf_sml_I14__hip_bfloat16N3c1013Float8_e4m3fnELi64ELi2ELi16ELi16ELi2ELi2EEviiiPKT0_S5_PT_PKfS9_ii.has_indirect_call, or(0, .L__assert_fail.has_indirect_call)
	.section	.AMDGPU.csdata,"",@progbits
; Kernel info:
; codeLenInByte = 96
; TotalNumSgprs: 36
; NumVgprs: 41
; ScratchSize: 64
; MemoryBound: 0
; FloatMode: 240
; IeeeMode: 1
; LDSByteSize: 0 bytes/workgroup (compile time only)
; SGPRBlocks: 0
; VGPRBlocks: 5
; NumSGPRsForWavesPerEU: 36
; NumVGPRsForWavesPerEU: 41
; Occupancy: 16
; WaveLimiterHint : 1
; COMPUTE_PGM_RSRC2:SCRATCH_EN: 1
; COMPUTE_PGM_RSRC2:USER_SGPR: 8
; COMPUTE_PGM_RSRC2:TRAP_HANDLER: 0
; COMPUTE_PGM_RSRC2:TGID_X_EN: 1
; COMPUTE_PGM_RSRC2:TGID_Y_EN: 0
; COMPUTE_PGM_RSRC2:TGID_Z_EN: 0
; COMPUTE_PGM_RSRC2:TIDIG_COMP_CNT: 0
	.section	.text._Z13wvSplitKQ_hf_I14__hip_bfloat16N3c1013Float8_e4m3fnELi64ELi2ELi16ELi16ELi2ELi2EEviiiPKT0_S5_PT_PKfS9_ii,"axG",@progbits,_Z13wvSplitKQ_hf_I14__hip_bfloat16N3c1013Float8_e4m3fnELi64ELi2ELi16ELi16ELi2ELi2EEviiiPKT0_S5_PT_PKfS9_ii,comdat
	.protected	_Z13wvSplitKQ_hf_I14__hip_bfloat16N3c1013Float8_e4m3fnELi64ELi2ELi16ELi16ELi2ELi2EEviiiPKT0_S5_PT_PKfS9_ii ; -- Begin function _Z13wvSplitKQ_hf_I14__hip_bfloat16N3c1013Float8_e4m3fnELi64ELi2ELi16ELi16ELi2ELi2EEviiiPKT0_S5_PT_PKfS9_ii
	.globl	_Z13wvSplitKQ_hf_I14__hip_bfloat16N3c1013Float8_e4m3fnELi64ELi2ELi16ELi16ELi2ELi2EEviiiPKT0_S5_PT_PKfS9_ii
	.p2align	8
	.type	_Z13wvSplitKQ_hf_I14__hip_bfloat16N3c1013Float8_e4m3fnELi64ELi2ELi16ELi16ELi2ELi2EEviiiPKT0_S5_PT_PKfS9_ii,@function
_Z13wvSplitKQ_hf_I14__hip_bfloat16N3c1013Float8_e4m3fnELi64ELi2ELi16ELi16ELi2ELi2EEviiiPKT0_S5_PT_PKfS9_ii: ; @_Z13wvSplitKQ_hf_I14__hip_bfloat16N3c1013Float8_e4m3fnELi64ELi2ELi16ELi16ELi2ELi2EEviiiPKT0_S5_PT_PKfS9_ii
; %bb.0:
	s_add_u32 s6, s6, s9
	s_mov_b32 s32, 0
	s_addc_u32 s7, s7, 0
	s_setreg_b32 hwreg(HW_REG_FLAT_SCR_LO), s6
	s_setreg_b32 hwreg(HW_REG_FLAT_SCR_HI), s7
	s_add_u32 s0, s0, s9
	s_addc_u32 s1, s1, 0
	s_add_u32 s8, s4, 64
	s_addc_u32 s9, s5, 0
	s_getpc_b64 s[4:5]
	s_add_u32 s4, s4, __PRETTY_FUNCTION__._Z13wvSplitKQ_hf_I14__hip_bfloat16N3c1013Float8_e4m3fnELi64ELi2ELi16ELi16ELi2ELi2EEviiiPKT0_S5_PT_PKfS9_ii@rel32@lo+4
	s_addc_u32 s5, s5, __PRETTY_FUNCTION__._Z13wvSplitKQ_hf_I14__hip_bfloat16N3c1013Float8_e4m3fnELi64ELi2ELi16ELi16ELi2ELi2EEviiiPKT0_S5_PT_PKfS9_ii@rel32@hi+12
	v_mov_b32_e32 v0, 0x66e
	v_mov_b32_e32 v1, s4
	;; [unrolled: 1-line block ×3, first 2 shown]
	s_getpc_b64 s[6:7]
	s_add_u32 s6, s6, __assert_fail@rel32@lo+4
	s_addc_u32 s7, s7, __assert_fail@rel32@hi+12
	s_swappc_b64 s[30:31], s[6:7]
	.section	.rodata,"a",@progbits
	.p2align	6, 0x0
	.amdhsa_kernel _Z13wvSplitKQ_hf_I14__hip_bfloat16N3c1013Float8_e4m3fnELi64ELi2ELi16ELi16ELi2ELi2EEviiiPKT0_S5_PT_PKfS9_ii
		.amdhsa_group_segment_fixed_size 0
		.amdhsa_private_segment_fixed_size 64
		.amdhsa_kernarg_size 320
		.amdhsa_user_sgpr_count 8
		.amdhsa_user_sgpr_private_segment_buffer 1
		.amdhsa_user_sgpr_dispatch_ptr 0
		.amdhsa_user_sgpr_queue_ptr 0
		.amdhsa_user_sgpr_kernarg_segment_ptr 1
		.amdhsa_user_sgpr_dispatch_id 0
		.amdhsa_user_sgpr_flat_scratch_init 1
		.amdhsa_user_sgpr_private_segment_size 0
		.amdhsa_wavefront_size32 1
		.amdhsa_uses_dynamic_stack 0
		.amdhsa_system_sgpr_private_segment_wavefront_offset 1
		.amdhsa_system_sgpr_workgroup_id_x 1
		.amdhsa_system_sgpr_workgroup_id_y 0
		.amdhsa_system_sgpr_workgroup_id_z 0
		.amdhsa_system_sgpr_workgroup_info 0
		.amdhsa_system_vgpr_workitem_id 0
		.amdhsa_next_free_vgpr 41
		.amdhsa_next_free_sgpr 34
		.amdhsa_reserve_vcc 1
		.amdhsa_reserve_flat_scratch 1
		.amdhsa_float_round_mode_32 0
		.amdhsa_float_round_mode_16_64 0
		.amdhsa_float_denorm_mode_32 3
		.amdhsa_float_denorm_mode_16_64 3
		.amdhsa_dx10_clamp 1
		.amdhsa_ieee_mode 1
		.amdhsa_fp16_overflow 0
		.amdhsa_workgroup_processor_mode 1
		.amdhsa_memory_ordered 1
		.amdhsa_forward_progress 1
		.amdhsa_shared_vgpr_count 0
		.amdhsa_exception_fp_ieee_invalid_op 0
		.amdhsa_exception_fp_denorm_src 0
		.amdhsa_exception_fp_ieee_div_zero 0
		.amdhsa_exception_fp_ieee_overflow 0
		.amdhsa_exception_fp_ieee_underflow 0
		.amdhsa_exception_fp_ieee_inexact 0
		.amdhsa_exception_int_div_zero 0
	.end_amdhsa_kernel
	.section	.text._Z13wvSplitKQ_hf_I14__hip_bfloat16N3c1013Float8_e4m3fnELi64ELi2ELi16ELi16ELi2ELi2EEviiiPKT0_S5_PT_PKfS9_ii,"axG",@progbits,_Z13wvSplitKQ_hf_I14__hip_bfloat16N3c1013Float8_e4m3fnELi64ELi2ELi16ELi16ELi2ELi2EEviiiPKT0_S5_PT_PKfS9_ii,comdat
.Lfunc_end53:
	.size	_Z13wvSplitKQ_hf_I14__hip_bfloat16N3c1013Float8_e4m3fnELi64ELi2ELi16ELi16ELi2ELi2EEviiiPKT0_S5_PT_PKfS9_ii, .Lfunc_end53-_Z13wvSplitKQ_hf_I14__hip_bfloat16N3c1013Float8_e4m3fnELi64ELi2ELi16ELi16ELi2ELi2EEviiiPKT0_S5_PT_PKfS9_ii
                                        ; -- End function
	.set _Z13wvSplitKQ_hf_I14__hip_bfloat16N3c1013Float8_e4m3fnELi64ELi2ELi16ELi16ELi2ELi2EEviiiPKT0_S5_PT_PKfS9_ii.num_vgpr, max(3, .L__assert_fail.num_vgpr)
	.set _Z13wvSplitKQ_hf_I14__hip_bfloat16N3c1013Float8_e4m3fnELi64ELi2ELi16ELi16ELi2ELi2EEviiiPKT0_S5_PT_PKfS9_ii.num_agpr, max(0, .L__assert_fail.num_agpr)
	.set _Z13wvSplitKQ_hf_I14__hip_bfloat16N3c1013Float8_e4m3fnELi64ELi2ELi16ELi16ELi2ELi2EEviiiPKT0_S5_PT_PKfS9_ii.numbered_sgpr, max(33, .L__assert_fail.numbered_sgpr)
	.set _Z13wvSplitKQ_hf_I14__hip_bfloat16N3c1013Float8_e4m3fnELi64ELi2ELi16ELi16ELi2ELi2EEviiiPKT0_S5_PT_PKfS9_ii.num_named_barrier, max(0, .L__assert_fail.num_named_barrier)
	.set _Z13wvSplitKQ_hf_I14__hip_bfloat16N3c1013Float8_e4m3fnELi64ELi2ELi16ELi16ELi2ELi2EEviiiPKT0_S5_PT_PKfS9_ii.private_seg_size, 0+max(.L__assert_fail.private_seg_size)
	.set _Z13wvSplitKQ_hf_I14__hip_bfloat16N3c1013Float8_e4m3fnELi64ELi2ELi16ELi16ELi2ELi2EEviiiPKT0_S5_PT_PKfS9_ii.uses_vcc, or(1, .L__assert_fail.uses_vcc)
	.set _Z13wvSplitKQ_hf_I14__hip_bfloat16N3c1013Float8_e4m3fnELi64ELi2ELi16ELi16ELi2ELi2EEviiiPKT0_S5_PT_PKfS9_ii.uses_flat_scratch, or(1, .L__assert_fail.uses_flat_scratch)
	.set _Z13wvSplitKQ_hf_I14__hip_bfloat16N3c1013Float8_e4m3fnELi64ELi2ELi16ELi16ELi2ELi2EEviiiPKT0_S5_PT_PKfS9_ii.has_dyn_sized_stack, or(0, .L__assert_fail.has_dyn_sized_stack)
	.set _Z13wvSplitKQ_hf_I14__hip_bfloat16N3c1013Float8_e4m3fnELi64ELi2ELi16ELi16ELi2ELi2EEviiiPKT0_S5_PT_PKfS9_ii.has_recursion, or(0, .L__assert_fail.has_recursion)
	.set _Z13wvSplitKQ_hf_I14__hip_bfloat16N3c1013Float8_e4m3fnELi64ELi2ELi16ELi16ELi2ELi2EEviiiPKT0_S5_PT_PKfS9_ii.has_indirect_call, or(0, .L__assert_fail.has_indirect_call)
	.section	.AMDGPU.csdata,"",@progbits
; Kernel info:
; codeLenInByte = 96
; TotalNumSgprs: 36
; NumVgprs: 41
; ScratchSize: 64
; MemoryBound: 0
; FloatMode: 240
; IeeeMode: 1
; LDSByteSize: 0 bytes/workgroup (compile time only)
; SGPRBlocks: 0
; VGPRBlocks: 5
; NumSGPRsForWavesPerEU: 36
; NumVGPRsForWavesPerEU: 41
; Occupancy: 16
; WaveLimiterHint : 1
; COMPUTE_PGM_RSRC2:SCRATCH_EN: 1
; COMPUTE_PGM_RSRC2:USER_SGPR: 8
; COMPUTE_PGM_RSRC2:TRAP_HANDLER: 0
; COMPUTE_PGM_RSRC2:TGID_X_EN: 1
; COMPUTE_PGM_RSRC2:TGID_Y_EN: 0
; COMPUTE_PGM_RSRC2:TGID_Z_EN: 0
; COMPUTE_PGM_RSRC2:TIDIG_COMP_CNT: 0
	.section	.text._Z17wvSplitKQ_hf_sml_I14__hip_bfloat16N3c1013Float8_e4m3fnELi64ELi4ELi16ELi16ELi1ELi3EEviiiPKT0_S5_PT_PKfS9_ii,"axG",@progbits,_Z17wvSplitKQ_hf_sml_I14__hip_bfloat16N3c1013Float8_e4m3fnELi64ELi4ELi16ELi16ELi1ELi3EEviiiPKT0_S5_PT_PKfS9_ii,comdat
	.protected	_Z17wvSplitKQ_hf_sml_I14__hip_bfloat16N3c1013Float8_e4m3fnELi64ELi4ELi16ELi16ELi1ELi3EEviiiPKT0_S5_PT_PKfS9_ii ; -- Begin function _Z17wvSplitKQ_hf_sml_I14__hip_bfloat16N3c1013Float8_e4m3fnELi64ELi4ELi16ELi16ELi1ELi3EEviiiPKT0_S5_PT_PKfS9_ii
	.globl	_Z17wvSplitKQ_hf_sml_I14__hip_bfloat16N3c1013Float8_e4m3fnELi64ELi4ELi16ELi16ELi1ELi3EEviiiPKT0_S5_PT_PKfS9_ii
	.p2align	8
	.type	_Z17wvSplitKQ_hf_sml_I14__hip_bfloat16N3c1013Float8_e4m3fnELi64ELi4ELi16ELi16ELi1ELi3EEviiiPKT0_S5_PT_PKfS9_ii,@function
_Z17wvSplitKQ_hf_sml_I14__hip_bfloat16N3c1013Float8_e4m3fnELi64ELi4ELi16ELi16ELi1ELi3EEviiiPKT0_S5_PT_PKfS9_ii: ; @_Z17wvSplitKQ_hf_sml_I14__hip_bfloat16N3c1013Float8_e4m3fnELi64ELi4ELi16ELi16ELi1ELi3EEviiiPKT0_S5_PT_PKfS9_ii
; %bb.0:
	s_add_u32 s6, s6, s9
	s_mov_b32 s32, 0
	s_addc_u32 s7, s7, 0
	s_setreg_b32 hwreg(HW_REG_FLAT_SCR_LO), s6
	s_setreg_b32 hwreg(HW_REG_FLAT_SCR_HI), s7
	s_add_u32 s0, s0, s9
	s_addc_u32 s1, s1, 0
	s_add_u32 s8, s4, 64
	s_addc_u32 s9, s5, 0
	s_getpc_b64 s[4:5]
	s_add_u32 s4, s4, __PRETTY_FUNCTION__._Z17wvSplitKQ_hf_sml_I14__hip_bfloat16N3c1013Float8_e4m3fnELi64ELi4ELi16ELi16ELi1ELi3EEviiiPKT0_S5_PT_PKfS9_ii@rel32@lo+4
	s_addc_u32 s5, s5, __PRETTY_FUNCTION__._Z17wvSplitKQ_hf_sml_I14__hip_bfloat16N3c1013Float8_e4m3fnELi64ELi4ELi16ELi16ELi1ELi3EEviiiPKT0_S5_PT_PKfS9_ii@rel32@hi+12
	v_mov_b32_e32 v0, 0x5c1
	v_mov_b32_e32 v1, s4
	;; [unrolled: 1-line block ×3, first 2 shown]
	s_getpc_b64 s[6:7]
	s_add_u32 s6, s6, __assert_fail@rel32@lo+4
	s_addc_u32 s7, s7, __assert_fail@rel32@hi+12
	s_swappc_b64 s[30:31], s[6:7]
	.section	.rodata,"a",@progbits
	.p2align	6, 0x0
	.amdhsa_kernel _Z17wvSplitKQ_hf_sml_I14__hip_bfloat16N3c1013Float8_e4m3fnELi64ELi4ELi16ELi16ELi1ELi3EEviiiPKT0_S5_PT_PKfS9_ii
		.amdhsa_group_segment_fixed_size 0
		.amdhsa_private_segment_fixed_size 64
		.amdhsa_kernarg_size 320
		.amdhsa_user_sgpr_count 8
		.amdhsa_user_sgpr_private_segment_buffer 1
		.amdhsa_user_sgpr_dispatch_ptr 0
		.amdhsa_user_sgpr_queue_ptr 0
		.amdhsa_user_sgpr_kernarg_segment_ptr 1
		.amdhsa_user_sgpr_dispatch_id 0
		.amdhsa_user_sgpr_flat_scratch_init 1
		.amdhsa_user_sgpr_private_segment_size 0
		.amdhsa_wavefront_size32 1
		.amdhsa_uses_dynamic_stack 0
		.amdhsa_system_sgpr_private_segment_wavefront_offset 1
		.amdhsa_system_sgpr_workgroup_id_x 1
		.amdhsa_system_sgpr_workgroup_id_y 0
		.amdhsa_system_sgpr_workgroup_id_z 0
		.amdhsa_system_sgpr_workgroup_info 0
		.amdhsa_system_vgpr_workitem_id 0
		.amdhsa_next_free_vgpr 41
		.amdhsa_next_free_sgpr 34
		.amdhsa_reserve_vcc 1
		.amdhsa_reserve_flat_scratch 1
		.amdhsa_float_round_mode_32 0
		.amdhsa_float_round_mode_16_64 0
		.amdhsa_float_denorm_mode_32 3
		.amdhsa_float_denorm_mode_16_64 3
		.amdhsa_dx10_clamp 1
		.amdhsa_ieee_mode 1
		.amdhsa_fp16_overflow 0
		.amdhsa_workgroup_processor_mode 1
		.amdhsa_memory_ordered 1
		.amdhsa_forward_progress 1
		.amdhsa_shared_vgpr_count 0
		.amdhsa_exception_fp_ieee_invalid_op 0
		.amdhsa_exception_fp_denorm_src 0
		.amdhsa_exception_fp_ieee_div_zero 0
		.amdhsa_exception_fp_ieee_overflow 0
		.amdhsa_exception_fp_ieee_underflow 0
		.amdhsa_exception_fp_ieee_inexact 0
		.amdhsa_exception_int_div_zero 0
	.end_amdhsa_kernel
	.section	.text._Z17wvSplitKQ_hf_sml_I14__hip_bfloat16N3c1013Float8_e4m3fnELi64ELi4ELi16ELi16ELi1ELi3EEviiiPKT0_S5_PT_PKfS9_ii,"axG",@progbits,_Z17wvSplitKQ_hf_sml_I14__hip_bfloat16N3c1013Float8_e4m3fnELi64ELi4ELi16ELi16ELi1ELi3EEviiiPKT0_S5_PT_PKfS9_ii,comdat
.Lfunc_end54:
	.size	_Z17wvSplitKQ_hf_sml_I14__hip_bfloat16N3c1013Float8_e4m3fnELi64ELi4ELi16ELi16ELi1ELi3EEviiiPKT0_S5_PT_PKfS9_ii, .Lfunc_end54-_Z17wvSplitKQ_hf_sml_I14__hip_bfloat16N3c1013Float8_e4m3fnELi64ELi4ELi16ELi16ELi1ELi3EEviiiPKT0_S5_PT_PKfS9_ii
                                        ; -- End function
	.set _Z17wvSplitKQ_hf_sml_I14__hip_bfloat16N3c1013Float8_e4m3fnELi64ELi4ELi16ELi16ELi1ELi3EEviiiPKT0_S5_PT_PKfS9_ii.num_vgpr, max(3, .L__assert_fail.num_vgpr)
	.set _Z17wvSplitKQ_hf_sml_I14__hip_bfloat16N3c1013Float8_e4m3fnELi64ELi4ELi16ELi16ELi1ELi3EEviiiPKT0_S5_PT_PKfS9_ii.num_agpr, max(0, .L__assert_fail.num_agpr)
	.set _Z17wvSplitKQ_hf_sml_I14__hip_bfloat16N3c1013Float8_e4m3fnELi64ELi4ELi16ELi16ELi1ELi3EEviiiPKT0_S5_PT_PKfS9_ii.numbered_sgpr, max(33, .L__assert_fail.numbered_sgpr)
	.set _Z17wvSplitKQ_hf_sml_I14__hip_bfloat16N3c1013Float8_e4m3fnELi64ELi4ELi16ELi16ELi1ELi3EEviiiPKT0_S5_PT_PKfS9_ii.num_named_barrier, max(0, .L__assert_fail.num_named_barrier)
	.set _Z17wvSplitKQ_hf_sml_I14__hip_bfloat16N3c1013Float8_e4m3fnELi64ELi4ELi16ELi16ELi1ELi3EEviiiPKT0_S5_PT_PKfS9_ii.private_seg_size, 0+max(.L__assert_fail.private_seg_size)
	.set _Z17wvSplitKQ_hf_sml_I14__hip_bfloat16N3c1013Float8_e4m3fnELi64ELi4ELi16ELi16ELi1ELi3EEviiiPKT0_S5_PT_PKfS9_ii.uses_vcc, or(1, .L__assert_fail.uses_vcc)
	.set _Z17wvSplitKQ_hf_sml_I14__hip_bfloat16N3c1013Float8_e4m3fnELi64ELi4ELi16ELi16ELi1ELi3EEviiiPKT0_S5_PT_PKfS9_ii.uses_flat_scratch, or(1, .L__assert_fail.uses_flat_scratch)
	.set _Z17wvSplitKQ_hf_sml_I14__hip_bfloat16N3c1013Float8_e4m3fnELi64ELi4ELi16ELi16ELi1ELi3EEviiiPKT0_S5_PT_PKfS9_ii.has_dyn_sized_stack, or(0, .L__assert_fail.has_dyn_sized_stack)
	.set _Z17wvSplitKQ_hf_sml_I14__hip_bfloat16N3c1013Float8_e4m3fnELi64ELi4ELi16ELi16ELi1ELi3EEviiiPKT0_S5_PT_PKfS9_ii.has_recursion, or(0, .L__assert_fail.has_recursion)
	.set _Z17wvSplitKQ_hf_sml_I14__hip_bfloat16N3c1013Float8_e4m3fnELi64ELi4ELi16ELi16ELi1ELi3EEviiiPKT0_S5_PT_PKfS9_ii.has_indirect_call, or(0, .L__assert_fail.has_indirect_call)
	.section	.AMDGPU.csdata,"",@progbits
; Kernel info:
; codeLenInByte = 96
; TotalNumSgprs: 36
; NumVgprs: 41
; ScratchSize: 64
; MemoryBound: 0
; FloatMode: 240
; IeeeMode: 1
; LDSByteSize: 0 bytes/workgroup (compile time only)
; SGPRBlocks: 0
; VGPRBlocks: 5
; NumSGPRsForWavesPerEU: 36
; NumVGPRsForWavesPerEU: 41
; Occupancy: 16
; WaveLimiterHint : 1
; COMPUTE_PGM_RSRC2:SCRATCH_EN: 1
; COMPUTE_PGM_RSRC2:USER_SGPR: 8
; COMPUTE_PGM_RSRC2:TRAP_HANDLER: 0
; COMPUTE_PGM_RSRC2:TGID_X_EN: 1
; COMPUTE_PGM_RSRC2:TGID_Y_EN: 0
; COMPUTE_PGM_RSRC2:TGID_Z_EN: 0
; COMPUTE_PGM_RSRC2:TIDIG_COMP_CNT: 0
	.section	.text._Z13wvSplitKQ_hf_I14__hip_bfloat16N3c1013Float8_e4m3fnELi64ELi7ELi16ELi16ELi1ELi3EEviiiPKT0_S5_PT_PKfS9_ii,"axG",@progbits,_Z13wvSplitKQ_hf_I14__hip_bfloat16N3c1013Float8_e4m3fnELi64ELi7ELi16ELi16ELi1ELi3EEviiiPKT0_S5_PT_PKfS9_ii,comdat
	.protected	_Z13wvSplitKQ_hf_I14__hip_bfloat16N3c1013Float8_e4m3fnELi64ELi7ELi16ELi16ELi1ELi3EEviiiPKT0_S5_PT_PKfS9_ii ; -- Begin function _Z13wvSplitKQ_hf_I14__hip_bfloat16N3c1013Float8_e4m3fnELi64ELi7ELi16ELi16ELi1ELi3EEviiiPKT0_S5_PT_PKfS9_ii
	.globl	_Z13wvSplitKQ_hf_I14__hip_bfloat16N3c1013Float8_e4m3fnELi64ELi7ELi16ELi16ELi1ELi3EEviiiPKT0_S5_PT_PKfS9_ii
	.p2align	8
	.type	_Z13wvSplitKQ_hf_I14__hip_bfloat16N3c1013Float8_e4m3fnELi64ELi7ELi16ELi16ELi1ELi3EEviiiPKT0_S5_PT_PKfS9_ii,@function
_Z13wvSplitKQ_hf_I14__hip_bfloat16N3c1013Float8_e4m3fnELi64ELi7ELi16ELi16ELi1ELi3EEviiiPKT0_S5_PT_PKfS9_ii: ; @_Z13wvSplitKQ_hf_I14__hip_bfloat16N3c1013Float8_e4m3fnELi64ELi7ELi16ELi16ELi1ELi3EEviiiPKT0_S5_PT_PKfS9_ii
; %bb.0:
	s_add_u32 s6, s6, s9
	s_mov_b32 s32, 0
	s_addc_u32 s7, s7, 0
	s_setreg_b32 hwreg(HW_REG_FLAT_SCR_LO), s6
	s_setreg_b32 hwreg(HW_REG_FLAT_SCR_HI), s7
	s_add_u32 s0, s0, s9
	s_addc_u32 s1, s1, 0
	s_add_u32 s8, s4, 64
	s_addc_u32 s9, s5, 0
	s_getpc_b64 s[4:5]
	s_add_u32 s4, s4, __PRETTY_FUNCTION__._Z13wvSplitKQ_hf_I14__hip_bfloat16N3c1013Float8_e4m3fnELi64ELi7ELi16ELi16ELi1ELi3EEviiiPKT0_S5_PT_PKfS9_ii@rel32@lo+4
	s_addc_u32 s5, s5, __PRETTY_FUNCTION__._Z13wvSplitKQ_hf_I14__hip_bfloat16N3c1013Float8_e4m3fnELi64ELi7ELi16ELi16ELi1ELi3EEviiiPKT0_S5_PT_PKfS9_ii@rel32@hi+12
	v_mov_b32_e32 v0, 0x66e
	v_mov_b32_e32 v1, s4
	;; [unrolled: 1-line block ×3, first 2 shown]
	s_getpc_b64 s[6:7]
	s_add_u32 s6, s6, __assert_fail@rel32@lo+4
	s_addc_u32 s7, s7, __assert_fail@rel32@hi+12
	s_swappc_b64 s[30:31], s[6:7]
	.section	.rodata,"a",@progbits
	.p2align	6, 0x0
	.amdhsa_kernel _Z13wvSplitKQ_hf_I14__hip_bfloat16N3c1013Float8_e4m3fnELi64ELi7ELi16ELi16ELi1ELi3EEviiiPKT0_S5_PT_PKfS9_ii
		.amdhsa_group_segment_fixed_size 0
		.amdhsa_private_segment_fixed_size 64
		.amdhsa_kernarg_size 320
		.amdhsa_user_sgpr_count 8
		.amdhsa_user_sgpr_private_segment_buffer 1
		.amdhsa_user_sgpr_dispatch_ptr 0
		.amdhsa_user_sgpr_queue_ptr 0
		.amdhsa_user_sgpr_kernarg_segment_ptr 1
		.amdhsa_user_sgpr_dispatch_id 0
		.amdhsa_user_sgpr_flat_scratch_init 1
		.amdhsa_user_sgpr_private_segment_size 0
		.amdhsa_wavefront_size32 1
		.amdhsa_uses_dynamic_stack 0
		.amdhsa_system_sgpr_private_segment_wavefront_offset 1
		.amdhsa_system_sgpr_workgroup_id_x 1
		.amdhsa_system_sgpr_workgroup_id_y 0
		.amdhsa_system_sgpr_workgroup_id_z 0
		.amdhsa_system_sgpr_workgroup_info 0
		.amdhsa_system_vgpr_workitem_id 0
		.amdhsa_next_free_vgpr 41
		.amdhsa_next_free_sgpr 34
		.amdhsa_reserve_vcc 1
		.amdhsa_reserve_flat_scratch 1
		.amdhsa_float_round_mode_32 0
		.amdhsa_float_round_mode_16_64 0
		.amdhsa_float_denorm_mode_32 3
		.amdhsa_float_denorm_mode_16_64 3
		.amdhsa_dx10_clamp 1
		.amdhsa_ieee_mode 1
		.amdhsa_fp16_overflow 0
		.amdhsa_workgroup_processor_mode 1
		.amdhsa_memory_ordered 1
		.amdhsa_forward_progress 1
		.amdhsa_shared_vgpr_count 0
		.amdhsa_exception_fp_ieee_invalid_op 0
		.amdhsa_exception_fp_denorm_src 0
		.amdhsa_exception_fp_ieee_div_zero 0
		.amdhsa_exception_fp_ieee_overflow 0
		.amdhsa_exception_fp_ieee_underflow 0
		.amdhsa_exception_fp_ieee_inexact 0
		.amdhsa_exception_int_div_zero 0
	.end_amdhsa_kernel
	.section	.text._Z13wvSplitKQ_hf_I14__hip_bfloat16N3c1013Float8_e4m3fnELi64ELi7ELi16ELi16ELi1ELi3EEviiiPKT0_S5_PT_PKfS9_ii,"axG",@progbits,_Z13wvSplitKQ_hf_I14__hip_bfloat16N3c1013Float8_e4m3fnELi64ELi7ELi16ELi16ELi1ELi3EEviiiPKT0_S5_PT_PKfS9_ii,comdat
.Lfunc_end55:
	.size	_Z13wvSplitKQ_hf_I14__hip_bfloat16N3c1013Float8_e4m3fnELi64ELi7ELi16ELi16ELi1ELi3EEviiiPKT0_S5_PT_PKfS9_ii, .Lfunc_end55-_Z13wvSplitKQ_hf_I14__hip_bfloat16N3c1013Float8_e4m3fnELi64ELi7ELi16ELi16ELi1ELi3EEviiiPKT0_S5_PT_PKfS9_ii
                                        ; -- End function
	.set _Z13wvSplitKQ_hf_I14__hip_bfloat16N3c1013Float8_e4m3fnELi64ELi7ELi16ELi16ELi1ELi3EEviiiPKT0_S5_PT_PKfS9_ii.num_vgpr, max(3, .L__assert_fail.num_vgpr)
	.set _Z13wvSplitKQ_hf_I14__hip_bfloat16N3c1013Float8_e4m3fnELi64ELi7ELi16ELi16ELi1ELi3EEviiiPKT0_S5_PT_PKfS9_ii.num_agpr, max(0, .L__assert_fail.num_agpr)
	.set _Z13wvSplitKQ_hf_I14__hip_bfloat16N3c1013Float8_e4m3fnELi64ELi7ELi16ELi16ELi1ELi3EEviiiPKT0_S5_PT_PKfS9_ii.numbered_sgpr, max(33, .L__assert_fail.numbered_sgpr)
	.set _Z13wvSplitKQ_hf_I14__hip_bfloat16N3c1013Float8_e4m3fnELi64ELi7ELi16ELi16ELi1ELi3EEviiiPKT0_S5_PT_PKfS9_ii.num_named_barrier, max(0, .L__assert_fail.num_named_barrier)
	.set _Z13wvSplitKQ_hf_I14__hip_bfloat16N3c1013Float8_e4m3fnELi64ELi7ELi16ELi16ELi1ELi3EEviiiPKT0_S5_PT_PKfS9_ii.private_seg_size, 0+max(.L__assert_fail.private_seg_size)
	.set _Z13wvSplitKQ_hf_I14__hip_bfloat16N3c1013Float8_e4m3fnELi64ELi7ELi16ELi16ELi1ELi3EEviiiPKT0_S5_PT_PKfS9_ii.uses_vcc, or(1, .L__assert_fail.uses_vcc)
	.set _Z13wvSplitKQ_hf_I14__hip_bfloat16N3c1013Float8_e4m3fnELi64ELi7ELi16ELi16ELi1ELi3EEviiiPKT0_S5_PT_PKfS9_ii.uses_flat_scratch, or(1, .L__assert_fail.uses_flat_scratch)
	.set _Z13wvSplitKQ_hf_I14__hip_bfloat16N3c1013Float8_e4m3fnELi64ELi7ELi16ELi16ELi1ELi3EEviiiPKT0_S5_PT_PKfS9_ii.has_dyn_sized_stack, or(0, .L__assert_fail.has_dyn_sized_stack)
	.set _Z13wvSplitKQ_hf_I14__hip_bfloat16N3c1013Float8_e4m3fnELi64ELi7ELi16ELi16ELi1ELi3EEviiiPKT0_S5_PT_PKfS9_ii.has_recursion, or(0, .L__assert_fail.has_recursion)
	.set _Z13wvSplitKQ_hf_I14__hip_bfloat16N3c1013Float8_e4m3fnELi64ELi7ELi16ELi16ELi1ELi3EEviiiPKT0_S5_PT_PKfS9_ii.has_indirect_call, or(0, .L__assert_fail.has_indirect_call)
	.section	.AMDGPU.csdata,"",@progbits
; Kernel info:
; codeLenInByte = 96
; TotalNumSgprs: 36
; NumVgprs: 41
; ScratchSize: 64
; MemoryBound: 0
; FloatMode: 240
; IeeeMode: 1
; LDSByteSize: 0 bytes/workgroup (compile time only)
; SGPRBlocks: 0
; VGPRBlocks: 5
; NumSGPRsForWavesPerEU: 36
; NumVGPRsForWavesPerEU: 41
; Occupancy: 16
; WaveLimiterHint : 1
; COMPUTE_PGM_RSRC2:SCRATCH_EN: 1
; COMPUTE_PGM_RSRC2:USER_SGPR: 8
; COMPUTE_PGM_RSRC2:TRAP_HANDLER: 0
; COMPUTE_PGM_RSRC2:TGID_X_EN: 1
; COMPUTE_PGM_RSRC2:TGID_Y_EN: 0
; COMPUTE_PGM_RSRC2:TGID_Z_EN: 0
; COMPUTE_PGM_RSRC2:TIDIG_COMP_CNT: 0
	.section	.text._Z17wvSplitKQ_hf_sml_I14__hip_bfloat16N3c1013Float8_e4m3fnELi64ELi4ELi16ELi16ELi1ELi4EEviiiPKT0_S5_PT_PKfS9_ii,"axG",@progbits,_Z17wvSplitKQ_hf_sml_I14__hip_bfloat16N3c1013Float8_e4m3fnELi64ELi4ELi16ELi16ELi1ELi4EEviiiPKT0_S5_PT_PKfS9_ii,comdat
	.protected	_Z17wvSplitKQ_hf_sml_I14__hip_bfloat16N3c1013Float8_e4m3fnELi64ELi4ELi16ELi16ELi1ELi4EEviiiPKT0_S5_PT_PKfS9_ii ; -- Begin function _Z17wvSplitKQ_hf_sml_I14__hip_bfloat16N3c1013Float8_e4m3fnELi64ELi4ELi16ELi16ELi1ELi4EEviiiPKT0_S5_PT_PKfS9_ii
	.globl	_Z17wvSplitKQ_hf_sml_I14__hip_bfloat16N3c1013Float8_e4m3fnELi64ELi4ELi16ELi16ELi1ELi4EEviiiPKT0_S5_PT_PKfS9_ii
	.p2align	8
	.type	_Z17wvSplitKQ_hf_sml_I14__hip_bfloat16N3c1013Float8_e4m3fnELi64ELi4ELi16ELi16ELi1ELi4EEviiiPKT0_S5_PT_PKfS9_ii,@function
_Z17wvSplitKQ_hf_sml_I14__hip_bfloat16N3c1013Float8_e4m3fnELi64ELi4ELi16ELi16ELi1ELi4EEviiiPKT0_S5_PT_PKfS9_ii: ; @_Z17wvSplitKQ_hf_sml_I14__hip_bfloat16N3c1013Float8_e4m3fnELi64ELi4ELi16ELi16ELi1ELi4EEviiiPKT0_S5_PT_PKfS9_ii
; %bb.0:
	s_add_u32 s6, s6, s9
	s_mov_b32 s32, 0
	s_addc_u32 s7, s7, 0
	s_setreg_b32 hwreg(HW_REG_FLAT_SCR_LO), s6
	s_setreg_b32 hwreg(HW_REG_FLAT_SCR_HI), s7
	s_add_u32 s0, s0, s9
	s_addc_u32 s1, s1, 0
	s_add_u32 s8, s4, 64
	s_addc_u32 s9, s5, 0
	s_getpc_b64 s[4:5]
	s_add_u32 s4, s4, __PRETTY_FUNCTION__._Z17wvSplitKQ_hf_sml_I14__hip_bfloat16N3c1013Float8_e4m3fnELi64ELi4ELi16ELi16ELi1ELi4EEviiiPKT0_S5_PT_PKfS9_ii@rel32@lo+4
	s_addc_u32 s5, s5, __PRETTY_FUNCTION__._Z17wvSplitKQ_hf_sml_I14__hip_bfloat16N3c1013Float8_e4m3fnELi64ELi4ELi16ELi16ELi1ELi4EEviiiPKT0_S5_PT_PKfS9_ii@rel32@hi+12
	v_mov_b32_e32 v0, 0x5c1
	v_mov_b32_e32 v1, s4
	;; [unrolled: 1-line block ×3, first 2 shown]
	s_getpc_b64 s[6:7]
	s_add_u32 s6, s6, __assert_fail@rel32@lo+4
	s_addc_u32 s7, s7, __assert_fail@rel32@hi+12
	s_swappc_b64 s[30:31], s[6:7]
	.section	.rodata,"a",@progbits
	.p2align	6, 0x0
	.amdhsa_kernel _Z17wvSplitKQ_hf_sml_I14__hip_bfloat16N3c1013Float8_e4m3fnELi64ELi4ELi16ELi16ELi1ELi4EEviiiPKT0_S5_PT_PKfS9_ii
		.amdhsa_group_segment_fixed_size 0
		.amdhsa_private_segment_fixed_size 64
		.amdhsa_kernarg_size 320
		.amdhsa_user_sgpr_count 8
		.amdhsa_user_sgpr_private_segment_buffer 1
		.amdhsa_user_sgpr_dispatch_ptr 0
		.amdhsa_user_sgpr_queue_ptr 0
		.amdhsa_user_sgpr_kernarg_segment_ptr 1
		.amdhsa_user_sgpr_dispatch_id 0
		.amdhsa_user_sgpr_flat_scratch_init 1
		.amdhsa_user_sgpr_private_segment_size 0
		.amdhsa_wavefront_size32 1
		.amdhsa_uses_dynamic_stack 0
		.amdhsa_system_sgpr_private_segment_wavefront_offset 1
		.amdhsa_system_sgpr_workgroup_id_x 1
		.amdhsa_system_sgpr_workgroup_id_y 0
		.amdhsa_system_sgpr_workgroup_id_z 0
		.amdhsa_system_sgpr_workgroup_info 0
		.amdhsa_system_vgpr_workitem_id 0
		.amdhsa_next_free_vgpr 41
		.amdhsa_next_free_sgpr 34
		.amdhsa_reserve_vcc 1
		.amdhsa_reserve_flat_scratch 1
		.amdhsa_float_round_mode_32 0
		.amdhsa_float_round_mode_16_64 0
		.amdhsa_float_denorm_mode_32 3
		.amdhsa_float_denorm_mode_16_64 3
		.amdhsa_dx10_clamp 1
		.amdhsa_ieee_mode 1
		.amdhsa_fp16_overflow 0
		.amdhsa_workgroup_processor_mode 1
		.amdhsa_memory_ordered 1
		.amdhsa_forward_progress 1
		.amdhsa_shared_vgpr_count 0
		.amdhsa_exception_fp_ieee_invalid_op 0
		.amdhsa_exception_fp_denorm_src 0
		.amdhsa_exception_fp_ieee_div_zero 0
		.amdhsa_exception_fp_ieee_overflow 0
		.amdhsa_exception_fp_ieee_underflow 0
		.amdhsa_exception_fp_ieee_inexact 0
		.amdhsa_exception_int_div_zero 0
	.end_amdhsa_kernel
	.section	.text._Z17wvSplitKQ_hf_sml_I14__hip_bfloat16N3c1013Float8_e4m3fnELi64ELi4ELi16ELi16ELi1ELi4EEviiiPKT0_S5_PT_PKfS9_ii,"axG",@progbits,_Z17wvSplitKQ_hf_sml_I14__hip_bfloat16N3c1013Float8_e4m3fnELi64ELi4ELi16ELi16ELi1ELi4EEviiiPKT0_S5_PT_PKfS9_ii,comdat
.Lfunc_end56:
	.size	_Z17wvSplitKQ_hf_sml_I14__hip_bfloat16N3c1013Float8_e4m3fnELi64ELi4ELi16ELi16ELi1ELi4EEviiiPKT0_S5_PT_PKfS9_ii, .Lfunc_end56-_Z17wvSplitKQ_hf_sml_I14__hip_bfloat16N3c1013Float8_e4m3fnELi64ELi4ELi16ELi16ELi1ELi4EEviiiPKT0_S5_PT_PKfS9_ii
                                        ; -- End function
	.set _Z17wvSplitKQ_hf_sml_I14__hip_bfloat16N3c1013Float8_e4m3fnELi64ELi4ELi16ELi16ELi1ELi4EEviiiPKT0_S5_PT_PKfS9_ii.num_vgpr, max(3, .L__assert_fail.num_vgpr)
	.set _Z17wvSplitKQ_hf_sml_I14__hip_bfloat16N3c1013Float8_e4m3fnELi64ELi4ELi16ELi16ELi1ELi4EEviiiPKT0_S5_PT_PKfS9_ii.num_agpr, max(0, .L__assert_fail.num_agpr)
	.set _Z17wvSplitKQ_hf_sml_I14__hip_bfloat16N3c1013Float8_e4m3fnELi64ELi4ELi16ELi16ELi1ELi4EEviiiPKT0_S5_PT_PKfS9_ii.numbered_sgpr, max(33, .L__assert_fail.numbered_sgpr)
	.set _Z17wvSplitKQ_hf_sml_I14__hip_bfloat16N3c1013Float8_e4m3fnELi64ELi4ELi16ELi16ELi1ELi4EEviiiPKT0_S5_PT_PKfS9_ii.num_named_barrier, max(0, .L__assert_fail.num_named_barrier)
	.set _Z17wvSplitKQ_hf_sml_I14__hip_bfloat16N3c1013Float8_e4m3fnELi64ELi4ELi16ELi16ELi1ELi4EEviiiPKT0_S5_PT_PKfS9_ii.private_seg_size, 0+max(.L__assert_fail.private_seg_size)
	.set _Z17wvSplitKQ_hf_sml_I14__hip_bfloat16N3c1013Float8_e4m3fnELi64ELi4ELi16ELi16ELi1ELi4EEviiiPKT0_S5_PT_PKfS9_ii.uses_vcc, or(1, .L__assert_fail.uses_vcc)
	.set _Z17wvSplitKQ_hf_sml_I14__hip_bfloat16N3c1013Float8_e4m3fnELi64ELi4ELi16ELi16ELi1ELi4EEviiiPKT0_S5_PT_PKfS9_ii.uses_flat_scratch, or(1, .L__assert_fail.uses_flat_scratch)
	.set _Z17wvSplitKQ_hf_sml_I14__hip_bfloat16N3c1013Float8_e4m3fnELi64ELi4ELi16ELi16ELi1ELi4EEviiiPKT0_S5_PT_PKfS9_ii.has_dyn_sized_stack, or(0, .L__assert_fail.has_dyn_sized_stack)
	.set _Z17wvSplitKQ_hf_sml_I14__hip_bfloat16N3c1013Float8_e4m3fnELi64ELi4ELi16ELi16ELi1ELi4EEviiiPKT0_S5_PT_PKfS9_ii.has_recursion, or(0, .L__assert_fail.has_recursion)
	.set _Z17wvSplitKQ_hf_sml_I14__hip_bfloat16N3c1013Float8_e4m3fnELi64ELi4ELi16ELi16ELi1ELi4EEviiiPKT0_S5_PT_PKfS9_ii.has_indirect_call, or(0, .L__assert_fail.has_indirect_call)
	.section	.AMDGPU.csdata,"",@progbits
; Kernel info:
; codeLenInByte = 96
; TotalNumSgprs: 36
; NumVgprs: 41
; ScratchSize: 64
; MemoryBound: 0
; FloatMode: 240
; IeeeMode: 1
; LDSByteSize: 0 bytes/workgroup (compile time only)
; SGPRBlocks: 0
; VGPRBlocks: 5
; NumSGPRsForWavesPerEU: 36
; NumVGPRsForWavesPerEU: 41
; Occupancy: 16
; WaveLimiterHint : 1
; COMPUTE_PGM_RSRC2:SCRATCH_EN: 1
; COMPUTE_PGM_RSRC2:USER_SGPR: 8
; COMPUTE_PGM_RSRC2:TRAP_HANDLER: 0
; COMPUTE_PGM_RSRC2:TGID_X_EN: 1
; COMPUTE_PGM_RSRC2:TGID_Y_EN: 0
; COMPUTE_PGM_RSRC2:TGID_Z_EN: 0
; COMPUTE_PGM_RSRC2:TIDIG_COMP_CNT: 0
	.section	.text._Z13wvSplitKQ_hf_I14__hip_bfloat16N3c1013Float8_e4m3fnELi64ELi7ELi16ELi16ELi1ELi4EEviiiPKT0_S5_PT_PKfS9_ii,"axG",@progbits,_Z13wvSplitKQ_hf_I14__hip_bfloat16N3c1013Float8_e4m3fnELi64ELi7ELi16ELi16ELi1ELi4EEviiiPKT0_S5_PT_PKfS9_ii,comdat
	.protected	_Z13wvSplitKQ_hf_I14__hip_bfloat16N3c1013Float8_e4m3fnELi64ELi7ELi16ELi16ELi1ELi4EEviiiPKT0_S5_PT_PKfS9_ii ; -- Begin function _Z13wvSplitKQ_hf_I14__hip_bfloat16N3c1013Float8_e4m3fnELi64ELi7ELi16ELi16ELi1ELi4EEviiiPKT0_S5_PT_PKfS9_ii
	.globl	_Z13wvSplitKQ_hf_I14__hip_bfloat16N3c1013Float8_e4m3fnELi64ELi7ELi16ELi16ELi1ELi4EEviiiPKT0_S5_PT_PKfS9_ii
	.p2align	8
	.type	_Z13wvSplitKQ_hf_I14__hip_bfloat16N3c1013Float8_e4m3fnELi64ELi7ELi16ELi16ELi1ELi4EEviiiPKT0_S5_PT_PKfS9_ii,@function
_Z13wvSplitKQ_hf_I14__hip_bfloat16N3c1013Float8_e4m3fnELi64ELi7ELi16ELi16ELi1ELi4EEviiiPKT0_S5_PT_PKfS9_ii: ; @_Z13wvSplitKQ_hf_I14__hip_bfloat16N3c1013Float8_e4m3fnELi64ELi7ELi16ELi16ELi1ELi4EEviiiPKT0_S5_PT_PKfS9_ii
; %bb.0:
	s_add_u32 s6, s6, s9
	s_mov_b32 s32, 0
	s_addc_u32 s7, s7, 0
	s_setreg_b32 hwreg(HW_REG_FLAT_SCR_LO), s6
	s_setreg_b32 hwreg(HW_REG_FLAT_SCR_HI), s7
	s_add_u32 s0, s0, s9
	s_addc_u32 s1, s1, 0
	s_add_u32 s8, s4, 64
	s_addc_u32 s9, s5, 0
	s_getpc_b64 s[4:5]
	s_add_u32 s4, s4, __PRETTY_FUNCTION__._Z13wvSplitKQ_hf_I14__hip_bfloat16N3c1013Float8_e4m3fnELi64ELi7ELi16ELi16ELi1ELi4EEviiiPKT0_S5_PT_PKfS9_ii@rel32@lo+4
	s_addc_u32 s5, s5, __PRETTY_FUNCTION__._Z13wvSplitKQ_hf_I14__hip_bfloat16N3c1013Float8_e4m3fnELi64ELi7ELi16ELi16ELi1ELi4EEviiiPKT0_S5_PT_PKfS9_ii@rel32@hi+12
	v_mov_b32_e32 v0, 0x66e
	v_mov_b32_e32 v1, s4
	;; [unrolled: 1-line block ×3, first 2 shown]
	s_getpc_b64 s[6:7]
	s_add_u32 s6, s6, __assert_fail@rel32@lo+4
	s_addc_u32 s7, s7, __assert_fail@rel32@hi+12
	s_swappc_b64 s[30:31], s[6:7]
	.section	.rodata,"a",@progbits
	.p2align	6, 0x0
	.amdhsa_kernel _Z13wvSplitKQ_hf_I14__hip_bfloat16N3c1013Float8_e4m3fnELi64ELi7ELi16ELi16ELi1ELi4EEviiiPKT0_S5_PT_PKfS9_ii
		.amdhsa_group_segment_fixed_size 0
		.amdhsa_private_segment_fixed_size 64
		.amdhsa_kernarg_size 320
		.amdhsa_user_sgpr_count 8
		.amdhsa_user_sgpr_private_segment_buffer 1
		.amdhsa_user_sgpr_dispatch_ptr 0
		.amdhsa_user_sgpr_queue_ptr 0
		.amdhsa_user_sgpr_kernarg_segment_ptr 1
		.amdhsa_user_sgpr_dispatch_id 0
		.amdhsa_user_sgpr_flat_scratch_init 1
		.amdhsa_user_sgpr_private_segment_size 0
		.amdhsa_wavefront_size32 1
		.amdhsa_uses_dynamic_stack 0
		.amdhsa_system_sgpr_private_segment_wavefront_offset 1
		.amdhsa_system_sgpr_workgroup_id_x 1
		.amdhsa_system_sgpr_workgroup_id_y 0
		.amdhsa_system_sgpr_workgroup_id_z 0
		.amdhsa_system_sgpr_workgroup_info 0
		.amdhsa_system_vgpr_workitem_id 0
		.amdhsa_next_free_vgpr 41
		.amdhsa_next_free_sgpr 34
		.amdhsa_reserve_vcc 1
		.amdhsa_reserve_flat_scratch 1
		.amdhsa_float_round_mode_32 0
		.amdhsa_float_round_mode_16_64 0
		.amdhsa_float_denorm_mode_32 3
		.amdhsa_float_denorm_mode_16_64 3
		.amdhsa_dx10_clamp 1
		.amdhsa_ieee_mode 1
		.amdhsa_fp16_overflow 0
		.amdhsa_workgroup_processor_mode 1
		.amdhsa_memory_ordered 1
		.amdhsa_forward_progress 1
		.amdhsa_shared_vgpr_count 0
		.amdhsa_exception_fp_ieee_invalid_op 0
		.amdhsa_exception_fp_denorm_src 0
		.amdhsa_exception_fp_ieee_div_zero 0
		.amdhsa_exception_fp_ieee_overflow 0
		.amdhsa_exception_fp_ieee_underflow 0
		.amdhsa_exception_fp_ieee_inexact 0
		.amdhsa_exception_int_div_zero 0
	.end_amdhsa_kernel
	.section	.text._Z13wvSplitKQ_hf_I14__hip_bfloat16N3c1013Float8_e4m3fnELi64ELi7ELi16ELi16ELi1ELi4EEviiiPKT0_S5_PT_PKfS9_ii,"axG",@progbits,_Z13wvSplitKQ_hf_I14__hip_bfloat16N3c1013Float8_e4m3fnELi64ELi7ELi16ELi16ELi1ELi4EEviiiPKT0_S5_PT_PKfS9_ii,comdat
.Lfunc_end57:
	.size	_Z13wvSplitKQ_hf_I14__hip_bfloat16N3c1013Float8_e4m3fnELi64ELi7ELi16ELi16ELi1ELi4EEviiiPKT0_S5_PT_PKfS9_ii, .Lfunc_end57-_Z13wvSplitKQ_hf_I14__hip_bfloat16N3c1013Float8_e4m3fnELi64ELi7ELi16ELi16ELi1ELi4EEviiiPKT0_S5_PT_PKfS9_ii
                                        ; -- End function
	.set _Z13wvSplitKQ_hf_I14__hip_bfloat16N3c1013Float8_e4m3fnELi64ELi7ELi16ELi16ELi1ELi4EEviiiPKT0_S5_PT_PKfS9_ii.num_vgpr, max(3, .L__assert_fail.num_vgpr)
	.set _Z13wvSplitKQ_hf_I14__hip_bfloat16N3c1013Float8_e4m3fnELi64ELi7ELi16ELi16ELi1ELi4EEviiiPKT0_S5_PT_PKfS9_ii.num_agpr, max(0, .L__assert_fail.num_agpr)
	.set _Z13wvSplitKQ_hf_I14__hip_bfloat16N3c1013Float8_e4m3fnELi64ELi7ELi16ELi16ELi1ELi4EEviiiPKT0_S5_PT_PKfS9_ii.numbered_sgpr, max(33, .L__assert_fail.numbered_sgpr)
	.set _Z13wvSplitKQ_hf_I14__hip_bfloat16N3c1013Float8_e4m3fnELi64ELi7ELi16ELi16ELi1ELi4EEviiiPKT0_S5_PT_PKfS9_ii.num_named_barrier, max(0, .L__assert_fail.num_named_barrier)
	.set _Z13wvSplitKQ_hf_I14__hip_bfloat16N3c1013Float8_e4m3fnELi64ELi7ELi16ELi16ELi1ELi4EEviiiPKT0_S5_PT_PKfS9_ii.private_seg_size, 0+max(.L__assert_fail.private_seg_size)
	.set _Z13wvSplitKQ_hf_I14__hip_bfloat16N3c1013Float8_e4m3fnELi64ELi7ELi16ELi16ELi1ELi4EEviiiPKT0_S5_PT_PKfS9_ii.uses_vcc, or(1, .L__assert_fail.uses_vcc)
	.set _Z13wvSplitKQ_hf_I14__hip_bfloat16N3c1013Float8_e4m3fnELi64ELi7ELi16ELi16ELi1ELi4EEviiiPKT0_S5_PT_PKfS9_ii.uses_flat_scratch, or(1, .L__assert_fail.uses_flat_scratch)
	.set _Z13wvSplitKQ_hf_I14__hip_bfloat16N3c1013Float8_e4m3fnELi64ELi7ELi16ELi16ELi1ELi4EEviiiPKT0_S5_PT_PKfS9_ii.has_dyn_sized_stack, or(0, .L__assert_fail.has_dyn_sized_stack)
	.set _Z13wvSplitKQ_hf_I14__hip_bfloat16N3c1013Float8_e4m3fnELi64ELi7ELi16ELi16ELi1ELi4EEviiiPKT0_S5_PT_PKfS9_ii.has_recursion, or(0, .L__assert_fail.has_recursion)
	.set _Z13wvSplitKQ_hf_I14__hip_bfloat16N3c1013Float8_e4m3fnELi64ELi7ELi16ELi16ELi1ELi4EEviiiPKT0_S5_PT_PKfS9_ii.has_indirect_call, or(0, .L__assert_fail.has_indirect_call)
	.section	.AMDGPU.csdata,"",@progbits
; Kernel info:
; codeLenInByte = 96
; TotalNumSgprs: 36
; NumVgprs: 41
; ScratchSize: 64
; MemoryBound: 0
; FloatMode: 240
; IeeeMode: 1
; LDSByteSize: 0 bytes/workgroup (compile time only)
; SGPRBlocks: 0
; VGPRBlocks: 5
; NumSGPRsForWavesPerEU: 36
; NumVGPRsForWavesPerEU: 41
; Occupancy: 16
; WaveLimiterHint : 1
; COMPUTE_PGM_RSRC2:SCRATCH_EN: 1
; COMPUTE_PGM_RSRC2:USER_SGPR: 8
; COMPUTE_PGM_RSRC2:TRAP_HANDLER: 0
; COMPUTE_PGM_RSRC2:TGID_X_EN: 1
; COMPUTE_PGM_RSRC2:TGID_Y_EN: 0
; COMPUTE_PGM_RSRC2:TGID_Z_EN: 0
; COMPUTE_PGM_RSRC2:TIDIG_COMP_CNT: 0
	.section	.text._Z17wvSplitKQ_hf_sml_I14__hip_bfloat16N3c1015Float8_e4m3fnuzELi64ELi2ELi16ELi16ELi2ELi1EEviiiPKT0_S5_PT_PKfS9_ii,"axG",@progbits,_Z17wvSplitKQ_hf_sml_I14__hip_bfloat16N3c1015Float8_e4m3fnuzELi64ELi2ELi16ELi16ELi2ELi1EEviiiPKT0_S5_PT_PKfS9_ii,comdat
	.protected	_Z17wvSplitKQ_hf_sml_I14__hip_bfloat16N3c1015Float8_e4m3fnuzELi64ELi2ELi16ELi16ELi2ELi1EEviiiPKT0_S5_PT_PKfS9_ii ; -- Begin function _Z17wvSplitKQ_hf_sml_I14__hip_bfloat16N3c1015Float8_e4m3fnuzELi64ELi2ELi16ELi16ELi2ELi1EEviiiPKT0_S5_PT_PKfS9_ii
	.globl	_Z17wvSplitKQ_hf_sml_I14__hip_bfloat16N3c1015Float8_e4m3fnuzELi64ELi2ELi16ELi16ELi2ELi1EEviiiPKT0_S5_PT_PKfS9_ii
	.p2align	8
	.type	_Z17wvSplitKQ_hf_sml_I14__hip_bfloat16N3c1015Float8_e4m3fnuzELi64ELi2ELi16ELi16ELi2ELi1EEviiiPKT0_S5_PT_PKfS9_ii,@function
_Z17wvSplitKQ_hf_sml_I14__hip_bfloat16N3c1015Float8_e4m3fnuzELi64ELi2ELi16ELi16ELi2ELi1EEviiiPKT0_S5_PT_PKfS9_ii: ; @_Z17wvSplitKQ_hf_sml_I14__hip_bfloat16N3c1015Float8_e4m3fnuzELi64ELi2ELi16ELi16ELi2ELi1EEviiiPKT0_S5_PT_PKfS9_ii
; %bb.0:
	s_add_u32 s6, s6, s9
	s_mov_b32 s32, 0
	s_addc_u32 s7, s7, 0
	s_setreg_b32 hwreg(HW_REG_FLAT_SCR_LO), s6
	s_setreg_b32 hwreg(HW_REG_FLAT_SCR_HI), s7
	s_add_u32 s0, s0, s9
	s_addc_u32 s1, s1, 0
	s_add_u32 s8, s4, 64
	s_addc_u32 s9, s5, 0
	s_getpc_b64 s[4:5]
	s_add_u32 s4, s4, __PRETTY_FUNCTION__._Z17wvSplitKQ_hf_sml_I14__hip_bfloat16N3c1015Float8_e4m3fnuzELi64ELi2ELi16ELi16ELi2ELi1EEviiiPKT0_S5_PT_PKfS9_ii@rel32@lo+4
	s_addc_u32 s5, s5, __PRETTY_FUNCTION__._Z17wvSplitKQ_hf_sml_I14__hip_bfloat16N3c1015Float8_e4m3fnuzELi64ELi2ELi16ELi16ELi2ELi1EEviiiPKT0_S5_PT_PKfS9_ii@rel32@hi+12
	v_mov_b32_e32 v0, 0x5c1
	v_mov_b32_e32 v1, s4
	;; [unrolled: 1-line block ×3, first 2 shown]
	s_getpc_b64 s[6:7]
	s_add_u32 s6, s6, __assert_fail@rel32@lo+4
	s_addc_u32 s7, s7, __assert_fail@rel32@hi+12
	s_swappc_b64 s[30:31], s[6:7]
	.section	.rodata,"a",@progbits
	.p2align	6, 0x0
	.amdhsa_kernel _Z17wvSplitKQ_hf_sml_I14__hip_bfloat16N3c1015Float8_e4m3fnuzELi64ELi2ELi16ELi16ELi2ELi1EEviiiPKT0_S5_PT_PKfS9_ii
		.amdhsa_group_segment_fixed_size 0
		.amdhsa_private_segment_fixed_size 64
		.amdhsa_kernarg_size 320
		.amdhsa_user_sgpr_count 8
		.amdhsa_user_sgpr_private_segment_buffer 1
		.amdhsa_user_sgpr_dispatch_ptr 0
		.amdhsa_user_sgpr_queue_ptr 0
		.amdhsa_user_sgpr_kernarg_segment_ptr 1
		.amdhsa_user_sgpr_dispatch_id 0
		.amdhsa_user_sgpr_flat_scratch_init 1
		.amdhsa_user_sgpr_private_segment_size 0
		.amdhsa_wavefront_size32 1
		.amdhsa_uses_dynamic_stack 0
		.amdhsa_system_sgpr_private_segment_wavefront_offset 1
		.amdhsa_system_sgpr_workgroup_id_x 1
		.amdhsa_system_sgpr_workgroup_id_y 0
		.amdhsa_system_sgpr_workgroup_id_z 0
		.amdhsa_system_sgpr_workgroup_info 0
		.amdhsa_system_vgpr_workitem_id 0
		.amdhsa_next_free_vgpr 41
		.amdhsa_next_free_sgpr 34
		.amdhsa_reserve_vcc 1
		.amdhsa_reserve_flat_scratch 1
		.amdhsa_float_round_mode_32 0
		.amdhsa_float_round_mode_16_64 0
		.amdhsa_float_denorm_mode_32 3
		.amdhsa_float_denorm_mode_16_64 3
		.amdhsa_dx10_clamp 1
		.amdhsa_ieee_mode 1
		.amdhsa_fp16_overflow 0
		.amdhsa_workgroup_processor_mode 1
		.amdhsa_memory_ordered 1
		.amdhsa_forward_progress 1
		.amdhsa_shared_vgpr_count 0
		.amdhsa_exception_fp_ieee_invalid_op 0
		.amdhsa_exception_fp_denorm_src 0
		.amdhsa_exception_fp_ieee_div_zero 0
		.amdhsa_exception_fp_ieee_overflow 0
		.amdhsa_exception_fp_ieee_underflow 0
		.amdhsa_exception_fp_ieee_inexact 0
		.amdhsa_exception_int_div_zero 0
	.end_amdhsa_kernel
	.section	.text._Z17wvSplitKQ_hf_sml_I14__hip_bfloat16N3c1015Float8_e4m3fnuzELi64ELi2ELi16ELi16ELi2ELi1EEviiiPKT0_S5_PT_PKfS9_ii,"axG",@progbits,_Z17wvSplitKQ_hf_sml_I14__hip_bfloat16N3c1015Float8_e4m3fnuzELi64ELi2ELi16ELi16ELi2ELi1EEviiiPKT0_S5_PT_PKfS9_ii,comdat
.Lfunc_end58:
	.size	_Z17wvSplitKQ_hf_sml_I14__hip_bfloat16N3c1015Float8_e4m3fnuzELi64ELi2ELi16ELi16ELi2ELi1EEviiiPKT0_S5_PT_PKfS9_ii, .Lfunc_end58-_Z17wvSplitKQ_hf_sml_I14__hip_bfloat16N3c1015Float8_e4m3fnuzELi64ELi2ELi16ELi16ELi2ELi1EEviiiPKT0_S5_PT_PKfS9_ii
                                        ; -- End function
	.set _Z17wvSplitKQ_hf_sml_I14__hip_bfloat16N3c1015Float8_e4m3fnuzELi64ELi2ELi16ELi16ELi2ELi1EEviiiPKT0_S5_PT_PKfS9_ii.num_vgpr, max(3, .L__assert_fail.num_vgpr)
	.set _Z17wvSplitKQ_hf_sml_I14__hip_bfloat16N3c1015Float8_e4m3fnuzELi64ELi2ELi16ELi16ELi2ELi1EEviiiPKT0_S5_PT_PKfS9_ii.num_agpr, max(0, .L__assert_fail.num_agpr)
	.set _Z17wvSplitKQ_hf_sml_I14__hip_bfloat16N3c1015Float8_e4m3fnuzELi64ELi2ELi16ELi16ELi2ELi1EEviiiPKT0_S5_PT_PKfS9_ii.numbered_sgpr, max(33, .L__assert_fail.numbered_sgpr)
	.set _Z17wvSplitKQ_hf_sml_I14__hip_bfloat16N3c1015Float8_e4m3fnuzELi64ELi2ELi16ELi16ELi2ELi1EEviiiPKT0_S5_PT_PKfS9_ii.num_named_barrier, max(0, .L__assert_fail.num_named_barrier)
	.set _Z17wvSplitKQ_hf_sml_I14__hip_bfloat16N3c1015Float8_e4m3fnuzELi64ELi2ELi16ELi16ELi2ELi1EEviiiPKT0_S5_PT_PKfS9_ii.private_seg_size, 0+max(.L__assert_fail.private_seg_size)
	.set _Z17wvSplitKQ_hf_sml_I14__hip_bfloat16N3c1015Float8_e4m3fnuzELi64ELi2ELi16ELi16ELi2ELi1EEviiiPKT0_S5_PT_PKfS9_ii.uses_vcc, or(1, .L__assert_fail.uses_vcc)
	.set _Z17wvSplitKQ_hf_sml_I14__hip_bfloat16N3c1015Float8_e4m3fnuzELi64ELi2ELi16ELi16ELi2ELi1EEviiiPKT0_S5_PT_PKfS9_ii.uses_flat_scratch, or(1, .L__assert_fail.uses_flat_scratch)
	.set _Z17wvSplitKQ_hf_sml_I14__hip_bfloat16N3c1015Float8_e4m3fnuzELi64ELi2ELi16ELi16ELi2ELi1EEviiiPKT0_S5_PT_PKfS9_ii.has_dyn_sized_stack, or(0, .L__assert_fail.has_dyn_sized_stack)
	.set _Z17wvSplitKQ_hf_sml_I14__hip_bfloat16N3c1015Float8_e4m3fnuzELi64ELi2ELi16ELi16ELi2ELi1EEviiiPKT0_S5_PT_PKfS9_ii.has_recursion, or(0, .L__assert_fail.has_recursion)
	.set _Z17wvSplitKQ_hf_sml_I14__hip_bfloat16N3c1015Float8_e4m3fnuzELi64ELi2ELi16ELi16ELi2ELi1EEviiiPKT0_S5_PT_PKfS9_ii.has_indirect_call, or(0, .L__assert_fail.has_indirect_call)
	.section	.AMDGPU.csdata,"",@progbits
; Kernel info:
; codeLenInByte = 96
; TotalNumSgprs: 36
; NumVgprs: 41
; ScratchSize: 64
; MemoryBound: 0
; FloatMode: 240
; IeeeMode: 1
; LDSByteSize: 0 bytes/workgroup (compile time only)
; SGPRBlocks: 0
; VGPRBlocks: 5
; NumSGPRsForWavesPerEU: 36
; NumVGPRsForWavesPerEU: 41
; Occupancy: 16
; WaveLimiterHint : 1
; COMPUTE_PGM_RSRC2:SCRATCH_EN: 1
; COMPUTE_PGM_RSRC2:USER_SGPR: 8
; COMPUTE_PGM_RSRC2:TRAP_HANDLER: 0
; COMPUTE_PGM_RSRC2:TGID_X_EN: 1
; COMPUTE_PGM_RSRC2:TGID_Y_EN: 0
; COMPUTE_PGM_RSRC2:TGID_Z_EN: 0
; COMPUTE_PGM_RSRC2:TIDIG_COMP_CNT: 0
	.section	.text._Z13wvSplitKQ_hf_I14__hip_bfloat16N3c1015Float8_e4m3fnuzELi64ELi2ELi16ELi16ELi2ELi1EEviiiPKT0_S5_PT_PKfS9_ii,"axG",@progbits,_Z13wvSplitKQ_hf_I14__hip_bfloat16N3c1015Float8_e4m3fnuzELi64ELi2ELi16ELi16ELi2ELi1EEviiiPKT0_S5_PT_PKfS9_ii,comdat
	.protected	_Z13wvSplitKQ_hf_I14__hip_bfloat16N3c1015Float8_e4m3fnuzELi64ELi2ELi16ELi16ELi2ELi1EEviiiPKT0_S5_PT_PKfS9_ii ; -- Begin function _Z13wvSplitKQ_hf_I14__hip_bfloat16N3c1015Float8_e4m3fnuzELi64ELi2ELi16ELi16ELi2ELi1EEviiiPKT0_S5_PT_PKfS9_ii
	.globl	_Z13wvSplitKQ_hf_I14__hip_bfloat16N3c1015Float8_e4m3fnuzELi64ELi2ELi16ELi16ELi2ELi1EEviiiPKT0_S5_PT_PKfS9_ii
	.p2align	8
	.type	_Z13wvSplitKQ_hf_I14__hip_bfloat16N3c1015Float8_e4m3fnuzELi64ELi2ELi16ELi16ELi2ELi1EEviiiPKT0_S5_PT_PKfS9_ii,@function
_Z13wvSplitKQ_hf_I14__hip_bfloat16N3c1015Float8_e4m3fnuzELi64ELi2ELi16ELi16ELi2ELi1EEviiiPKT0_S5_PT_PKfS9_ii: ; @_Z13wvSplitKQ_hf_I14__hip_bfloat16N3c1015Float8_e4m3fnuzELi64ELi2ELi16ELi16ELi2ELi1EEviiiPKT0_S5_PT_PKfS9_ii
; %bb.0:
	s_add_u32 s6, s6, s9
	s_mov_b32 s32, 0
	s_addc_u32 s7, s7, 0
	s_setreg_b32 hwreg(HW_REG_FLAT_SCR_LO), s6
	s_setreg_b32 hwreg(HW_REG_FLAT_SCR_HI), s7
	s_add_u32 s0, s0, s9
	s_addc_u32 s1, s1, 0
	s_add_u32 s8, s4, 64
	s_addc_u32 s9, s5, 0
	s_getpc_b64 s[4:5]
	s_add_u32 s4, s4, __PRETTY_FUNCTION__._Z13wvSplitKQ_hf_I14__hip_bfloat16N3c1015Float8_e4m3fnuzELi64ELi2ELi16ELi16ELi2ELi1EEviiiPKT0_S5_PT_PKfS9_ii@rel32@lo+4
	s_addc_u32 s5, s5, __PRETTY_FUNCTION__._Z13wvSplitKQ_hf_I14__hip_bfloat16N3c1015Float8_e4m3fnuzELi64ELi2ELi16ELi16ELi2ELi1EEviiiPKT0_S5_PT_PKfS9_ii@rel32@hi+12
	v_mov_b32_e32 v0, 0x66e
	v_mov_b32_e32 v1, s4
	;; [unrolled: 1-line block ×3, first 2 shown]
	s_getpc_b64 s[6:7]
	s_add_u32 s6, s6, __assert_fail@rel32@lo+4
	s_addc_u32 s7, s7, __assert_fail@rel32@hi+12
	s_swappc_b64 s[30:31], s[6:7]
	.section	.rodata,"a",@progbits
	.p2align	6, 0x0
	.amdhsa_kernel _Z13wvSplitKQ_hf_I14__hip_bfloat16N3c1015Float8_e4m3fnuzELi64ELi2ELi16ELi16ELi2ELi1EEviiiPKT0_S5_PT_PKfS9_ii
		.amdhsa_group_segment_fixed_size 0
		.amdhsa_private_segment_fixed_size 64
		.amdhsa_kernarg_size 320
		.amdhsa_user_sgpr_count 8
		.amdhsa_user_sgpr_private_segment_buffer 1
		.amdhsa_user_sgpr_dispatch_ptr 0
		.amdhsa_user_sgpr_queue_ptr 0
		.amdhsa_user_sgpr_kernarg_segment_ptr 1
		.amdhsa_user_sgpr_dispatch_id 0
		.amdhsa_user_sgpr_flat_scratch_init 1
		.amdhsa_user_sgpr_private_segment_size 0
		.amdhsa_wavefront_size32 1
		.amdhsa_uses_dynamic_stack 0
		.amdhsa_system_sgpr_private_segment_wavefront_offset 1
		.amdhsa_system_sgpr_workgroup_id_x 1
		.amdhsa_system_sgpr_workgroup_id_y 0
		.amdhsa_system_sgpr_workgroup_id_z 0
		.amdhsa_system_sgpr_workgroup_info 0
		.amdhsa_system_vgpr_workitem_id 0
		.amdhsa_next_free_vgpr 41
		.amdhsa_next_free_sgpr 34
		.amdhsa_reserve_vcc 1
		.amdhsa_reserve_flat_scratch 1
		.amdhsa_float_round_mode_32 0
		.amdhsa_float_round_mode_16_64 0
		.amdhsa_float_denorm_mode_32 3
		.amdhsa_float_denorm_mode_16_64 3
		.amdhsa_dx10_clamp 1
		.amdhsa_ieee_mode 1
		.amdhsa_fp16_overflow 0
		.amdhsa_workgroup_processor_mode 1
		.amdhsa_memory_ordered 1
		.amdhsa_forward_progress 1
		.amdhsa_shared_vgpr_count 0
		.amdhsa_exception_fp_ieee_invalid_op 0
		.amdhsa_exception_fp_denorm_src 0
		.amdhsa_exception_fp_ieee_div_zero 0
		.amdhsa_exception_fp_ieee_overflow 0
		.amdhsa_exception_fp_ieee_underflow 0
		.amdhsa_exception_fp_ieee_inexact 0
		.amdhsa_exception_int_div_zero 0
	.end_amdhsa_kernel
	.section	.text._Z13wvSplitKQ_hf_I14__hip_bfloat16N3c1015Float8_e4m3fnuzELi64ELi2ELi16ELi16ELi2ELi1EEviiiPKT0_S5_PT_PKfS9_ii,"axG",@progbits,_Z13wvSplitKQ_hf_I14__hip_bfloat16N3c1015Float8_e4m3fnuzELi64ELi2ELi16ELi16ELi2ELi1EEviiiPKT0_S5_PT_PKfS9_ii,comdat
.Lfunc_end59:
	.size	_Z13wvSplitKQ_hf_I14__hip_bfloat16N3c1015Float8_e4m3fnuzELi64ELi2ELi16ELi16ELi2ELi1EEviiiPKT0_S5_PT_PKfS9_ii, .Lfunc_end59-_Z13wvSplitKQ_hf_I14__hip_bfloat16N3c1015Float8_e4m3fnuzELi64ELi2ELi16ELi16ELi2ELi1EEviiiPKT0_S5_PT_PKfS9_ii
                                        ; -- End function
	.set _Z13wvSplitKQ_hf_I14__hip_bfloat16N3c1015Float8_e4m3fnuzELi64ELi2ELi16ELi16ELi2ELi1EEviiiPKT0_S5_PT_PKfS9_ii.num_vgpr, max(3, .L__assert_fail.num_vgpr)
	.set _Z13wvSplitKQ_hf_I14__hip_bfloat16N3c1015Float8_e4m3fnuzELi64ELi2ELi16ELi16ELi2ELi1EEviiiPKT0_S5_PT_PKfS9_ii.num_agpr, max(0, .L__assert_fail.num_agpr)
	.set _Z13wvSplitKQ_hf_I14__hip_bfloat16N3c1015Float8_e4m3fnuzELi64ELi2ELi16ELi16ELi2ELi1EEviiiPKT0_S5_PT_PKfS9_ii.numbered_sgpr, max(33, .L__assert_fail.numbered_sgpr)
	.set _Z13wvSplitKQ_hf_I14__hip_bfloat16N3c1015Float8_e4m3fnuzELi64ELi2ELi16ELi16ELi2ELi1EEviiiPKT0_S5_PT_PKfS9_ii.num_named_barrier, max(0, .L__assert_fail.num_named_barrier)
	.set _Z13wvSplitKQ_hf_I14__hip_bfloat16N3c1015Float8_e4m3fnuzELi64ELi2ELi16ELi16ELi2ELi1EEviiiPKT0_S5_PT_PKfS9_ii.private_seg_size, 0+max(.L__assert_fail.private_seg_size)
	.set _Z13wvSplitKQ_hf_I14__hip_bfloat16N3c1015Float8_e4m3fnuzELi64ELi2ELi16ELi16ELi2ELi1EEviiiPKT0_S5_PT_PKfS9_ii.uses_vcc, or(1, .L__assert_fail.uses_vcc)
	.set _Z13wvSplitKQ_hf_I14__hip_bfloat16N3c1015Float8_e4m3fnuzELi64ELi2ELi16ELi16ELi2ELi1EEviiiPKT0_S5_PT_PKfS9_ii.uses_flat_scratch, or(1, .L__assert_fail.uses_flat_scratch)
	.set _Z13wvSplitKQ_hf_I14__hip_bfloat16N3c1015Float8_e4m3fnuzELi64ELi2ELi16ELi16ELi2ELi1EEviiiPKT0_S5_PT_PKfS9_ii.has_dyn_sized_stack, or(0, .L__assert_fail.has_dyn_sized_stack)
	.set _Z13wvSplitKQ_hf_I14__hip_bfloat16N3c1015Float8_e4m3fnuzELi64ELi2ELi16ELi16ELi2ELi1EEviiiPKT0_S5_PT_PKfS9_ii.has_recursion, or(0, .L__assert_fail.has_recursion)
	.set _Z13wvSplitKQ_hf_I14__hip_bfloat16N3c1015Float8_e4m3fnuzELi64ELi2ELi16ELi16ELi2ELi1EEviiiPKT0_S5_PT_PKfS9_ii.has_indirect_call, or(0, .L__assert_fail.has_indirect_call)
	.section	.AMDGPU.csdata,"",@progbits
; Kernel info:
; codeLenInByte = 96
; TotalNumSgprs: 36
; NumVgprs: 41
; ScratchSize: 64
; MemoryBound: 0
; FloatMode: 240
; IeeeMode: 1
; LDSByteSize: 0 bytes/workgroup (compile time only)
; SGPRBlocks: 0
; VGPRBlocks: 5
; NumSGPRsForWavesPerEU: 36
; NumVGPRsForWavesPerEU: 41
; Occupancy: 16
; WaveLimiterHint : 1
; COMPUTE_PGM_RSRC2:SCRATCH_EN: 1
; COMPUTE_PGM_RSRC2:USER_SGPR: 8
; COMPUTE_PGM_RSRC2:TRAP_HANDLER: 0
; COMPUTE_PGM_RSRC2:TGID_X_EN: 1
; COMPUTE_PGM_RSRC2:TGID_Y_EN: 0
; COMPUTE_PGM_RSRC2:TGID_Z_EN: 0
; COMPUTE_PGM_RSRC2:TIDIG_COMP_CNT: 0
	.section	.text._Z17wvSplitKQ_hf_sml_I14__hip_bfloat16N3c1015Float8_e4m3fnuzELi64ELi2ELi16ELi16ELi2ELi2EEviiiPKT0_S5_PT_PKfS9_ii,"axG",@progbits,_Z17wvSplitKQ_hf_sml_I14__hip_bfloat16N3c1015Float8_e4m3fnuzELi64ELi2ELi16ELi16ELi2ELi2EEviiiPKT0_S5_PT_PKfS9_ii,comdat
	.protected	_Z17wvSplitKQ_hf_sml_I14__hip_bfloat16N3c1015Float8_e4m3fnuzELi64ELi2ELi16ELi16ELi2ELi2EEviiiPKT0_S5_PT_PKfS9_ii ; -- Begin function _Z17wvSplitKQ_hf_sml_I14__hip_bfloat16N3c1015Float8_e4m3fnuzELi64ELi2ELi16ELi16ELi2ELi2EEviiiPKT0_S5_PT_PKfS9_ii
	.globl	_Z17wvSplitKQ_hf_sml_I14__hip_bfloat16N3c1015Float8_e4m3fnuzELi64ELi2ELi16ELi16ELi2ELi2EEviiiPKT0_S5_PT_PKfS9_ii
	.p2align	8
	.type	_Z17wvSplitKQ_hf_sml_I14__hip_bfloat16N3c1015Float8_e4m3fnuzELi64ELi2ELi16ELi16ELi2ELi2EEviiiPKT0_S5_PT_PKfS9_ii,@function
_Z17wvSplitKQ_hf_sml_I14__hip_bfloat16N3c1015Float8_e4m3fnuzELi64ELi2ELi16ELi16ELi2ELi2EEviiiPKT0_S5_PT_PKfS9_ii: ; @_Z17wvSplitKQ_hf_sml_I14__hip_bfloat16N3c1015Float8_e4m3fnuzELi64ELi2ELi16ELi16ELi2ELi2EEviiiPKT0_S5_PT_PKfS9_ii
; %bb.0:
	s_add_u32 s6, s6, s9
	s_mov_b32 s32, 0
	s_addc_u32 s7, s7, 0
	s_setreg_b32 hwreg(HW_REG_FLAT_SCR_LO), s6
	s_setreg_b32 hwreg(HW_REG_FLAT_SCR_HI), s7
	s_add_u32 s0, s0, s9
	s_addc_u32 s1, s1, 0
	s_add_u32 s8, s4, 64
	s_addc_u32 s9, s5, 0
	s_getpc_b64 s[4:5]
	s_add_u32 s4, s4, __PRETTY_FUNCTION__._Z17wvSplitKQ_hf_sml_I14__hip_bfloat16N3c1015Float8_e4m3fnuzELi64ELi2ELi16ELi16ELi2ELi2EEviiiPKT0_S5_PT_PKfS9_ii@rel32@lo+4
	s_addc_u32 s5, s5, __PRETTY_FUNCTION__._Z17wvSplitKQ_hf_sml_I14__hip_bfloat16N3c1015Float8_e4m3fnuzELi64ELi2ELi16ELi16ELi2ELi2EEviiiPKT0_S5_PT_PKfS9_ii@rel32@hi+12
	v_mov_b32_e32 v0, 0x5c1
	v_mov_b32_e32 v1, s4
	;; [unrolled: 1-line block ×3, first 2 shown]
	s_getpc_b64 s[6:7]
	s_add_u32 s6, s6, __assert_fail@rel32@lo+4
	s_addc_u32 s7, s7, __assert_fail@rel32@hi+12
	s_swappc_b64 s[30:31], s[6:7]
	.section	.rodata,"a",@progbits
	.p2align	6, 0x0
	.amdhsa_kernel _Z17wvSplitKQ_hf_sml_I14__hip_bfloat16N3c1015Float8_e4m3fnuzELi64ELi2ELi16ELi16ELi2ELi2EEviiiPKT0_S5_PT_PKfS9_ii
		.amdhsa_group_segment_fixed_size 0
		.amdhsa_private_segment_fixed_size 64
		.amdhsa_kernarg_size 320
		.amdhsa_user_sgpr_count 8
		.amdhsa_user_sgpr_private_segment_buffer 1
		.amdhsa_user_sgpr_dispatch_ptr 0
		.amdhsa_user_sgpr_queue_ptr 0
		.amdhsa_user_sgpr_kernarg_segment_ptr 1
		.amdhsa_user_sgpr_dispatch_id 0
		.amdhsa_user_sgpr_flat_scratch_init 1
		.amdhsa_user_sgpr_private_segment_size 0
		.amdhsa_wavefront_size32 1
		.amdhsa_uses_dynamic_stack 0
		.amdhsa_system_sgpr_private_segment_wavefront_offset 1
		.amdhsa_system_sgpr_workgroup_id_x 1
		.amdhsa_system_sgpr_workgroup_id_y 0
		.amdhsa_system_sgpr_workgroup_id_z 0
		.amdhsa_system_sgpr_workgroup_info 0
		.amdhsa_system_vgpr_workitem_id 0
		.amdhsa_next_free_vgpr 41
		.amdhsa_next_free_sgpr 34
		.amdhsa_reserve_vcc 1
		.amdhsa_reserve_flat_scratch 1
		.amdhsa_float_round_mode_32 0
		.amdhsa_float_round_mode_16_64 0
		.amdhsa_float_denorm_mode_32 3
		.amdhsa_float_denorm_mode_16_64 3
		.amdhsa_dx10_clamp 1
		.amdhsa_ieee_mode 1
		.amdhsa_fp16_overflow 0
		.amdhsa_workgroup_processor_mode 1
		.amdhsa_memory_ordered 1
		.amdhsa_forward_progress 1
		.amdhsa_shared_vgpr_count 0
		.amdhsa_exception_fp_ieee_invalid_op 0
		.amdhsa_exception_fp_denorm_src 0
		.amdhsa_exception_fp_ieee_div_zero 0
		.amdhsa_exception_fp_ieee_overflow 0
		.amdhsa_exception_fp_ieee_underflow 0
		.amdhsa_exception_fp_ieee_inexact 0
		.amdhsa_exception_int_div_zero 0
	.end_amdhsa_kernel
	.section	.text._Z17wvSplitKQ_hf_sml_I14__hip_bfloat16N3c1015Float8_e4m3fnuzELi64ELi2ELi16ELi16ELi2ELi2EEviiiPKT0_S5_PT_PKfS9_ii,"axG",@progbits,_Z17wvSplitKQ_hf_sml_I14__hip_bfloat16N3c1015Float8_e4m3fnuzELi64ELi2ELi16ELi16ELi2ELi2EEviiiPKT0_S5_PT_PKfS9_ii,comdat
.Lfunc_end60:
	.size	_Z17wvSplitKQ_hf_sml_I14__hip_bfloat16N3c1015Float8_e4m3fnuzELi64ELi2ELi16ELi16ELi2ELi2EEviiiPKT0_S5_PT_PKfS9_ii, .Lfunc_end60-_Z17wvSplitKQ_hf_sml_I14__hip_bfloat16N3c1015Float8_e4m3fnuzELi64ELi2ELi16ELi16ELi2ELi2EEviiiPKT0_S5_PT_PKfS9_ii
                                        ; -- End function
	.set _Z17wvSplitKQ_hf_sml_I14__hip_bfloat16N3c1015Float8_e4m3fnuzELi64ELi2ELi16ELi16ELi2ELi2EEviiiPKT0_S5_PT_PKfS9_ii.num_vgpr, max(3, .L__assert_fail.num_vgpr)
	.set _Z17wvSplitKQ_hf_sml_I14__hip_bfloat16N3c1015Float8_e4m3fnuzELi64ELi2ELi16ELi16ELi2ELi2EEviiiPKT0_S5_PT_PKfS9_ii.num_agpr, max(0, .L__assert_fail.num_agpr)
	.set _Z17wvSplitKQ_hf_sml_I14__hip_bfloat16N3c1015Float8_e4m3fnuzELi64ELi2ELi16ELi16ELi2ELi2EEviiiPKT0_S5_PT_PKfS9_ii.numbered_sgpr, max(33, .L__assert_fail.numbered_sgpr)
	.set _Z17wvSplitKQ_hf_sml_I14__hip_bfloat16N3c1015Float8_e4m3fnuzELi64ELi2ELi16ELi16ELi2ELi2EEviiiPKT0_S5_PT_PKfS9_ii.num_named_barrier, max(0, .L__assert_fail.num_named_barrier)
	.set _Z17wvSplitKQ_hf_sml_I14__hip_bfloat16N3c1015Float8_e4m3fnuzELi64ELi2ELi16ELi16ELi2ELi2EEviiiPKT0_S5_PT_PKfS9_ii.private_seg_size, 0+max(.L__assert_fail.private_seg_size)
	.set _Z17wvSplitKQ_hf_sml_I14__hip_bfloat16N3c1015Float8_e4m3fnuzELi64ELi2ELi16ELi16ELi2ELi2EEviiiPKT0_S5_PT_PKfS9_ii.uses_vcc, or(1, .L__assert_fail.uses_vcc)
	.set _Z17wvSplitKQ_hf_sml_I14__hip_bfloat16N3c1015Float8_e4m3fnuzELi64ELi2ELi16ELi16ELi2ELi2EEviiiPKT0_S5_PT_PKfS9_ii.uses_flat_scratch, or(1, .L__assert_fail.uses_flat_scratch)
	.set _Z17wvSplitKQ_hf_sml_I14__hip_bfloat16N3c1015Float8_e4m3fnuzELi64ELi2ELi16ELi16ELi2ELi2EEviiiPKT0_S5_PT_PKfS9_ii.has_dyn_sized_stack, or(0, .L__assert_fail.has_dyn_sized_stack)
	.set _Z17wvSplitKQ_hf_sml_I14__hip_bfloat16N3c1015Float8_e4m3fnuzELi64ELi2ELi16ELi16ELi2ELi2EEviiiPKT0_S5_PT_PKfS9_ii.has_recursion, or(0, .L__assert_fail.has_recursion)
	.set _Z17wvSplitKQ_hf_sml_I14__hip_bfloat16N3c1015Float8_e4m3fnuzELi64ELi2ELi16ELi16ELi2ELi2EEviiiPKT0_S5_PT_PKfS9_ii.has_indirect_call, or(0, .L__assert_fail.has_indirect_call)
	.section	.AMDGPU.csdata,"",@progbits
; Kernel info:
; codeLenInByte = 96
; TotalNumSgprs: 36
; NumVgprs: 41
; ScratchSize: 64
; MemoryBound: 0
; FloatMode: 240
; IeeeMode: 1
; LDSByteSize: 0 bytes/workgroup (compile time only)
; SGPRBlocks: 0
; VGPRBlocks: 5
; NumSGPRsForWavesPerEU: 36
; NumVGPRsForWavesPerEU: 41
; Occupancy: 16
; WaveLimiterHint : 1
; COMPUTE_PGM_RSRC2:SCRATCH_EN: 1
; COMPUTE_PGM_RSRC2:USER_SGPR: 8
; COMPUTE_PGM_RSRC2:TRAP_HANDLER: 0
; COMPUTE_PGM_RSRC2:TGID_X_EN: 1
; COMPUTE_PGM_RSRC2:TGID_Y_EN: 0
; COMPUTE_PGM_RSRC2:TGID_Z_EN: 0
; COMPUTE_PGM_RSRC2:TIDIG_COMP_CNT: 0
	.section	.text._Z13wvSplitKQ_hf_I14__hip_bfloat16N3c1015Float8_e4m3fnuzELi64ELi2ELi16ELi16ELi2ELi2EEviiiPKT0_S5_PT_PKfS9_ii,"axG",@progbits,_Z13wvSplitKQ_hf_I14__hip_bfloat16N3c1015Float8_e4m3fnuzELi64ELi2ELi16ELi16ELi2ELi2EEviiiPKT0_S5_PT_PKfS9_ii,comdat
	.protected	_Z13wvSplitKQ_hf_I14__hip_bfloat16N3c1015Float8_e4m3fnuzELi64ELi2ELi16ELi16ELi2ELi2EEviiiPKT0_S5_PT_PKfS9_ii ; -- Begin function _Z13wvSplitKQ_hf_I14__hip_bfloat16N3c1015Float8_e4m3fnuzELi64ELi2ELi16ELi16ELi2ELi2EEviiiPKT0_S5_PT_PKfS9_ii
	.globl	_Z13wvSplitKQ_hf_I14__hip_bfloat16N3c1015Float8_e4m3fnuzELi64ELi2ELi16ELi16ELi2ELi2EEviiiPKT0_S5_PT_PKfS9_ii
	.p2align	8
	.type	_Z13wvSplitKQ_hf_I14__hip_bfloat16N3c1015Float8_e4m3fnuzELi64ELi2ELi16ELi16ELi2ELi2EEviiiPKT0_S5_PT_PKfS9_ii,@function
_Z13wvSplitKQ_hf_I14__hip_bfloat16N3c1015Float8_e4m3fnuzELi64ELi2ELi16ELi16ELi2ELi2EEviiiPKT0_S5_PT_PKfS9_ii: ; @_Z13wvSplitKQ_hf_I14__hip_bfloat16N3c1015Float8_e4m3fnuzELi64ELi2ELi16ELi16ELi2ELi2EEviiiPKT0_S5_PT_PKfS9_ii
; %bb.0:
	s_add_u32 s6, s6, s9
	s_mov_b32 s32, 0
	s_addc_u32 s7, s7, 0
	s_setreg_b32 hwreg(HW_REG_FLAT_SCR_LO), s6
	s_setreg_b32 hwreg(HW_REG_FLAT_SCR_HI), s7
	s_add_u32 s0, s0, s9
	s_addc_u32 s1, s1, 0
	s_add_u32 s8, s4, 64
	s_addc_u32 s9, s5, 0
	s_getpc_b64 s[4:5]
	s_add_u32 s4, s4, __PRETTY_FUNCTION__._Z13wvSplitKQ_hf_I14__hip_bfloat16N3c1015Float8_e4m3fnuzELi64ELi2ELi16ELi16ELi2ELi2EEviiiPKT0_S5_PT_PKfS9_ii@rel32@lo+4
	s_addc_u32 s5, s5, __PRETTY_FUNCTION__._Z13wvSplitKQ_hf_I14__hip_bfloat16N3c1015Float8_e4m3fnuzELi64ELi2ELi16ELi16ELi2ELi2EEviiiPKT0_S5_PT_PKfS9_ii@rel32@hi+12
	v_mov_b32_e32 v0, 0x66e
	v_mov_b32_e32 v1, s4
	;; [unrolled: 1-line block ×3, first 2 shown]
	s_getpc_b64 s[6:7]
	s_add_u32 s6, s6, __assert_fail@rel32@lo+4
	s_addc_u32 s7, s7, __assert_fail@rel32@hi+12
	s_swappc_b64 s[30:31], s[6:7]
	.section	.rodata,"a",@progbits
	.p2align	6, 0x0
	.amdhsa_kernel _Z13wvSplitKQ_hf_I14__hip_bfloat16N3c1015Float8_e4m3fnuzELi64ELi2ELi16ELi16ELi2ELi2EEviiiPKT0_S5_PT_PKfS9_ii
		.amdhsa_group_segment_fixed_size 0
		.amdhsa_private_segment_fixed_size 64
		.amdhsa_kernarg_size 320
		.amdhsa_user_sgpr_count 8
		.amdhsa_user_sgpr_private_segment_buffer 1
		.amdhsa_user_sgpr_dispatch_ptr 0
		.amdhsa_user_sgpr_queue_ptr 0
		.amdhsa_user_sgpr_kernarg_segment_ptr 1
		.amdhsa_user_sgpr_dispatch_id 0
		.amdhsa_user_sgpr_flat_scratch_init 1
		.amdhsa_user_sgpr_private_segment_size 0
		.amdhsa_wavefront_size32 1
		.amdhsa_uses_dynamic_stack 0
		.amdhsa_system_sgpr_private_segment_wavefront_offset 1
		.amdhsa_system_sgpr_workgroup_id_x 1
		.amdhsa_system_sgpr_workgroup_id_y 0
		.amdhsa_system_sgpr_workgroup_id_z 0
		.amdhsa_system_sgpr_workgroup_info 0
		.amdhsa_system_vgpr_workitem_id 0
		.amdhsa_next_free_vgpr 41
		.amdhsa_next_free_sgpr 34
		.amdhsa_reserve_vcc 1
		.amdhsa_reserve_flat_scratch 1
		.amdhsa_float_round_mode_32 0
		.amdhsa_float_round_mode_16_64 0
		.amdhsa_float_denorm_mode_32 3
		.amdhsa_float_denorm_mode_16_64 3
		.amdhsa_dx10_clamp 1
		.amdhsa_ieee_mode 1
		.amdhsa_fp16_overflow 0
		.amdhsa_workgroup_processor_mode 1
		.amdhsa_memory_ordered 1
		.amdhsa_forward_progress 1
		.amdhsa_shared_vgpr_count 0
		.amdhsa_exception_fp_ieee_invalid_op 0
		.amdhsa_exception_fp_denorm_src 0
		.amdhsa_exception_fp_ieee_div_zero 0
		.amdhsa_exception_fp_ieee_overflow 0
		.amdhsa_exception_fp_ieee_underflow 0
		.amdhsa_exception_fp_ieee_inexact 0
		.amdhsa_exception_int_div_zero 0
	.end_amdhsa_kernel
	.section	.text._Z13wvSplitKQ_hf_I14__hip_bfloat16N3c1015Float8_e4m3fnuzELi64ELi2ELi16ELi16ELi2ELi2EEviiiPKT0_S5_PT_PKfS9_ii,"axG",@progbits,_Z13wvSplitKQ_hf_I14__hip_bfloat16N3c1015Float8_e4m3fnuzELi64ELi2ELi16ELi16ELi2ELi2EEviiiPKT0_S5_PT_PKfS9_ii,comdat
.Lfunc_end61:
	.size	_Z13wvSplitKQ_hf_I14__hip_bfloat16N3c1015Float8_e4m3fnuzELi64ELi2ELi16ELi16ELi2ELi2EEviiiPKT0_S5_PT_PKfS9_ii, .Lfunc_end61-_Z13wvSplitKQ_hf_I14__hip_bfloat16N3c1015Float8_e4m3fnuzELi64ELi2ELi16ELi16ELi2ELi2EEviiiPKT0_S5_PT_PKfS9_ii
                                        ; -- End function
	.set _Z13wvSplitKQ_hf_I14__hip_bfloat16N3c1015Float8_e4m3fnuzELi64ELi2ELi16ELi16ELi2ELi2EEviiiPKT0_S5_PT_PKfS9_ii.num_vgpr, max(3, .L__assert_fail.num_vgpr)
	.set _Z13wvSplitKQ_hf_I14__hip_bfloat16N3c1015Float8_e4m3fnuzELi64ELi2ELi16ELi16ELi2ELi2EEviiiPKT0_S5_PT_PKfS9_ii.num_agpr, max(0, .L__assert_fail.num_agpr)
	.set _Z13wvSplitKQ_hf_I14__hip_bfloat16N3c1015Float8_e4m3fnuzELi64ELi2ELi16ELi16ELi2ELi2EEviiiPKT0_S5_PT_PKfS9_ii.numbered_sgpr, max(33, .L__assert_fail.numbered_sgpr)
	.set _Z13wvSplitKQ_hf_I14__hip_bfloat16N3c1015Float8_e4m3fnuzELi64ELi2ELi16ELi16ELi2ELi2EEviiiPKT0_S5_PT_PKfS9_ii.num_named_barrier, max(0, .L__assert_fail.num_named_barrier)
	.set _Z13wvSplitKQ_hf_I14__hip_bfloat16N3c1015Float8_e4m3fnuzELi64ELi2ELi16ELi16ELi2ELi2EEviiiPKT0_S5_PT_PKfS9_ii.private_seg_size, 0+max(.L__assert_fail.private_seg_size)
	.set _Z13wvSplitKQ_hf_I14__hip_bfloat16N3c1015Float8_e4m3fnuzELi64ELi2ELi16ELi16ELi2ELi2EEviiiPKT0_S5_PT_PKfS9_ii.uses_vcc, or(1, .L__assert_fail.uses_vcc)
	.set _Z13wvSplitKQ_hf_I14__hip_bfloat16N3c1015Float8_e4m3fnuzELi64ELi2ELi16ELi16ELi2ELi2EEviiiPKT0_S5_PT_PKfS9_ii.uses_flat_scratch, or(1, .L__assert_fail.uses_flat_scratch)
	.set _Z13wvSplitKQ_hf_I14__hip_bfloat16N3c1015Float8_e4m3fnuzELi64ELi2ELi16ELi16ELi2ELi2EEviiiPKT0_S5_PT_PKfS9_ii.has_dyn_sized_stack, or(0, .L__assert_fail.has_dyn_sized_stack)
	.set _Z13wvSplitKQ_hf_I14__hip_bfloat16N3c1015Float8_e4m3fnuzELi64ELi2ELi16ELi16ELi2ELi2EEviiiPKT0_S5_PT_PKfS9_ii.has_recursion, or(0, .L__assert_fail.has_recursion)
	.set _Z13wvSplitKQ_hf_I14__hip_bfloat16N3c1015Float8_e4m3fnuzELi64ELi2ELi16ELi16ELi2ELi2EEviiiPKT0_S5_PT_PKfS9_ii.has_indirect_call, or(0, .L__assert_fail.has_indirect_call)
	.section	.AMDGPU.csdata,"",@progbits
; Kernel info:
; codeLenInByte = 96
; TotalNumSgprs: 36
; NumVgprs: 41
; ScratchSize: 64
; MemoryBound: 0
; FloatMode: 240
; IeeeMode: 1
; LDSByteSize: 0 bytes/workgroup (compile time only)
; SGPRBlocks: 0
; VGPRBlocks: 5
; NumSGPRsForWavesPerEU: 36
; NumVGPRsForWavesPerEU: 41
; Occupancy: 16
; WaveLimiterHint : 1
; COMPUTE_PGM_RSRC2:SCRATCH_EN: 1
; COMPUTE_PGM_RSRC2:USER_SGPR: 8
; COMPUTE_PGM_RSRC2:TRAP_HANDLER: 0
; COMPUTE_PGM_RSRC2:TGID_X_EN: 1
; COMPUTE_PGM_RSRC2:TGID_Y_EN: 0
; COMPUTE_PGM_RSRC2:TGID_Z_EN: 0
; COMPUTE_PGM_RSRC2:TIDIG_COMP_CNT: 0
	.section	.text._Z17wvSplitKQ_hf_sml_I14__hip_bfloat16N3c1015Float8_e4m3fnuzELi64ELi4ELi16ELi16ELi1ELi3EEviiiPKT0_S5_PT_PKfS9_ii,"axG",@progbits,_Z17wvSplitKQ_hf_sml_I14__hip_bfloat16N3c1015Float8_e4m3fnuzELi64ELi4ELi16ELi16ELi1ELi3EEviiiPKT0_S5_PT_PKfS9_ii,comdat
	.protected	_Z17wvSplitKQ_hf_sml_I14__hip_bfloat16N3c1015Float8_e4m3fnuzELi64ELi4ELi16ELi16ELi1ELi3EEviiiPKT0_S5_PT_PKfS9_ii ; -- Begin function _Z17wvSplitKQ_hf_sml_I14__hip_bfloat16N3c1015Float8_e4m3fnuzELi64ELi4ELi16ELi16ELi1ELi3EEviiiPKT0_S5_PT_PKfS9_ii
	.globl	_Z17wvSplitKQ_hf_sml_I14__hip_bfloat16N3c1015Float8_e4m3fnuzELi64ELi4ELi16ELi16ELi1ELi3EEviiiPKT0_S5_PT_PKfS9_ii
	.p2align	8
	.type	_Z17wvSplitKQ_hf_sml_I14__hip_bfloat16N3c1015Float8_e4m3fnuzELi64ELi4ELi16ELi16ELi1ELi3EEviiiPKT0_S5_PT_PKfS9_ii,@function
_Z17wvSplitKQ_hf_sml_I14__hip_bfloat16N3c1015Float8_e4m3fnuzELi64ELi4ELi16ELi16ELi1ELi3EEviiiPKT0_S5_PT_PKfS9_ii: ; @_Z17wvSplitKQ_hf_sml_I14__hip_bfloat16N3c1015Float8_e4m3fnuzELi64ELi4ELi16ELi16ELi1ELi3EEviiiPKT0_S5_PT_PKfS9_ii
; %bb.0:
	s_add_u32 s6, s6, s9
	s_mov_b32 s32, 0
	s_addc_u32 s7, s7, 0
	s_setreg_b32 hwreg(HW_REG_FLAT_SCR_LO), s6
	s_setreg_b32 hwreg(HW_REG_FLAT_SCR_HI), s7
	s_add_u32 s0, s0, s9
	s_addc_u32 s1, s1, 0
	s_add_u32 s8, s4, 64
	s_addc_u32 s9, s5, 0
	s_getpc_b64 s[4:5]
	s_add_u32 s4, s4, __PRETTY_FUNCTION__._Z17wvSplitKQ_hf_sml_I14__hip_bfloat16N3c1015Float8_e4m3fnuzELi64ELi4ELi16ELi16ELi1ELi3EEviiiPKT0_S5_PT_PKfS9_ii@rel32@lo+4
	s_addc_u32 s5, s5, __PRETTY_FUNCTION__._Z17wvSplitKQ_hf_sml_I14__hip_bfloat16N3c1015Float8_e4m3fnuzELi64ELi4ELi16ELi16ELi1ELi3EEviiiPKT0_S5_PT_PKfS9_ii@rel32@hi+12
	v_mov_b32_e32 v0, 0x5c1
	v_mov_b32_e32 v1, s4
	;; [unrolled: 1-line block ×3, first 2 shown]
	s_getpc_b64 s[6:7]
	s_add_u32 s6, s6, __assert_fail@rel32@lo+4
	s_addc_u32 s7, s7, __assert_fail@rel32@hi+12
	s_swappc_b64 s[30:31], s[6:7]
	.section	.rodata,"a",@progbits
	.p2align	6, 0x0
	.amdhsa_kernel _Z17wvSplitKQ_hf_sml_I14__hip_bfloat16N3c1015Float8_e4m3fnuzELi64ELi4ELi16ELi16ELi1ELi3EEviiiPKT0_S5_PT_PKfS9_ii
		.amdhsa_group_segment_fixed_size 0
		.amdhsa_private_segment_fixed_size 64
		.amdhsa_kernarg_size 320
		.amdhsa_user_sgpr_count 8
		.amdhsa_user_sgpr_private_segment_buffer 1
		.amdhsa_user_sgpr_dispatch_ptr 0
		.amdhsa_user_sgpr_queue_ptr 0
		.amdhsa_user_sgpr_kernarg_segment_ptr 1
		.amdhsa_user_sgpr_dispatch_id 0
		.amdhsa_user_sgpr_flat_scratch_init 1
		.amdhsa_user_sgpr_private_segment_size 0
		.amdhsa_wavefront_size32 1
		.amdhsa_uses_dynamic_stack 0
		.amdhsa_system_sgpr_private_segment_wavefront_offset 1
		.amdhsa_system_sgpr_workgroup_id_x 1
		.amdhsa_system_sgpr_workgroup_id_y 0
		.amdhsa_system_sgpr_workgroup_id_z 0
		.amdhsa_system_sgpr_workgroup_info 0
		.amdhsa_system_vgpr_workitem_id 0
		.amdhsa_next_free_vgpr 41
		.amdhsa_next_free_sgpr 34
		.amdhsa_reserve_vcc 1
		.amdhsa_reserve_flat_scratch 1
		.amdhsa_float_round_mode_32 0
		.amdhsa_float_round_mode_16_64 0
		.amdhsa_float_denorm_mode_32 3
		.amdhsa_float_denorm_mode_16_64 3
		.amdhsa_dx10_clamp 1
		.amdhsa_ieee_mode 1
		.amdhsa_fp16_overflow 0
		.amdhsa_workgroup_processor_mode 1
		.amdhsa_memory_ordered 1
		.amdhsa_forward_progress 1
		.amdhsa_shared_vgpr_count 0
		.amdhsa_exception_fp_ieee_invalid_op 0
		.amdhsa_exception_fp_denorm_src 0
		.amdhsa_exception_fp_ieee_div_zero 0
		.amdhsa_exception_fp_ieee_overflow 0
		.amdhsa_exception_fp_ieee_underflow 0
		.amdhsa_exception_fp_ieee_inexact 0
		.amdhsa_exception_int_div_zero 0
	.end_amdhsa_kernel
	.section	.text._Z17wvSplitKQ_hf_sml_I14__hip_bfloat16N3c1015Float8_e4m3fnuzELi64ELi4ELi16ELi16ELi1ELi3EEviiiPKT0_S5_PT_PKfS9_ii,"axG",@progbits,_Z17wvSplitKQ_hf_sml_I14__hip_bfloat16N3c1015Float8_e4m3fnuzELi64ELi4ELi16ELi16ELi1ELi3EEviiiPKT0_S5_PT_PKfS9_ii,comdat
.Lfunc_end62:
	.size	_Z17wvSplitKQ_hf_sml_I14__hip_bfloat16N3c1015Float8_e4m3fnuzELi64ELi4ELi16ELi16ELi1ELi3EEviiiPKT0_S5_PT_PKfS9_ii, .Lfunc_end62-_Z17wvSplitKQ_hf_sml_I14__hip_bfloat16N3c1015Float8_e4m3fnuzELi64ELi4ELi16ELi16ELi1ELi3EEviiiPKT0_S5_PT_PKfS9_ii
                                        ; -- End function
	.set _Z17wvSplitKQ_hf_sml_I14__hip_bfloat16N3c1015Float8_e4m3fnuzELi64ELi4ELi16ELi16ELi1ELi3EEviiiPKT0_S5_PT_PKfS9_ii.num_vgpr, max(3, .L__assert_fail.num_vgpr)
	.set _Z17wvSplitKQ_hf_sml_I14__hip_bfloat16N3c1015Float8_e4m3fnuzELi64ELi4ELi16ELi16ELi1ELi3EEviiiPKT0_S5_PT_PKfS9_ii.num_agpr, max(0, .L__assert_fail.num_agpr)
	.set _Z17wvSplitKQ_hf_sml_I14__hip_bfloat16N3c1015Float8_e4m3fnuzELi64ELi4ELi16ELi16ELi1ELi3EEviiiPKT0_S5_PT_PKfS9_ii.numbered_sgpr, max(33, .L__assert_fail.numbered_sgpr)
	.set _Z17wvSplitKQ_hf_sml_I14__hip_bfloat16N3c1015Float8_e4m3fnuzELi64ELi4ELi16ELi16ELi1ELi3EEviiiPKT0_S5_PT_PKfS9_ii.num_named_barrier, max(0, .L__assert_fail.num_named_barrier)
	.set _Z17wvSplitKQ_hf_sml_I14__hip_bfloat16N3c1015Float8_e4m3fnuzELi64ELi4ELi16ELi16ELi1ELi3EEviiiPKT0_S5_PT_PKfS9_ii.private_seg_size, 0+max(.L__assert_fail.private_seg_size)
	.set _Z17wvSplitKQ_hf_sml_I14__hip_bfloat16N3c1015Float8_e4m3fnuzELi64ELi4ELi16ELi16ELi1ELi3EEviiiPKT0_S5_PT_PKfS9_ii.uses_vcc, or(1, .L__assert_fail.uses_vcc)
	.set _Z17wvSplitKQ_hf_sml_I14__hip_bfloat16N3c1015Float8_e4m3fnuzELi64ELi4ELi16ELi16ELi1ELi3EEviiiPKT0_S5_PT_PKfS9_ii.uses_flat_scratch, or(1, .L__assert_fail.uses_flat_scratch)
	.set _Z17wvSplitKQ_hf_sml_I14__hip_bfloat16N3c1015Float8_e4m3fnuzELi64ELi4ELi16ELi16ELi1ELi3EEviiiPKT0_S5_PT_PKfS9_ii.has_dyn_sized_stack, or(0, .L__assert_fail.has_dyn_sized_stack)
	.set _Z17wvSplitKQ_hf_sml_I14__hip_bfloat16N3c1015Float8_e4m3fnuzELi64ELi4ELi16ELi16ELi1ELi3EEviiiPKT0_S5_PT_PKfS9_ii.has_recursion, or(0, .L__assert_fail.has_recursion)
	.set _Z17wvSplitKQ_hf_sml_I14__hip_bfloat16N3c1015Float8_e4m3fnuzELi64ELi4ELi16ELi16ELi1ELi3EEviiiPKT0_S5_PT_PKfS9_ii.has_indirect_call, or(0, .L__assert_fail.has_indirect_call)
	.section	.AMDGPU.csdata,"",@progbits
; Kernel info:
; codeLenInByte = 96
; TotalNumSgprs: 36
; NumVgprs: 41
; ScratchSize: 64
; MemoryBound: 0
; FloatMode: 240
; IeeeMode: 1
; LDSByteSize: 0 bytes/workgroup (compile time only)
; SGPRBlocks: 0
; VGPRBlocks: 5
; NumSGPRsForWavesPerEU: 36
; NumVGPRsForWavesPerEU: 41
; Occupancy: 16
; WaveLimiterHint : 1
; COMPUTE_PGM_RSRC2:SCRATCH_EN: 1
; COMPUTE_PGM_RSRC2:USER_SGPR: 8
; COMPUTE_PGM_RSRC2:TRAP_HANDLER: 0
; COMPUTE_PGM_RSRC2:TGID_X_EN: 1
; COMPUTE_PGM_RSRC2:TGID_Y_EN: 0
; COMPUTE_PGM_RSRC2:TGID_Z_EN: 0
; COMPUTE_PGM_RSRC2:TIDIG_COMP_CNT: 0
	.section	.text._Z13wvSplitKQ_hf_I14__hip_bfloat16N3c1015Float8_e4m3fnuzELi64ELi7ELi16ELi16ELi1ELi3EEviiiPKT0_S5_PT_PKfS9_ii,"axG",@progbits,_Z13wvSplitKQ_hf_I14__hip_bfloat16N3c1015Float8_e4m3fnuzELi64ELi7ELi16ELi16ELi1ELi3EEviiiPKT0_S5_PT_PKfS9_ii,comdat
	.protected	_Z13wvSplitKQ_hf_I14__hip_bfloat16N3c1015Float8_e4m3fnuzELi64ELi7ELi16ELi16ELi1ELi3EEviiiPKT0_S5_PT_PKfS9_ii ; -- Begin function _Z13wvSplitKQ_hf_I14__hip_bfloat16N3c1015Float8_e4m3fnuzELi64ELi7ELi16ELi16ELi1ELi3EEviiiPKT0_S5_PT_PKfS9_ii
	.globl	_Z13wvSplitKQ_hf_I14__hip_bfloat16N3c1015Float8_e4m3fnuzELi64ELi7ELi16ELi16ELi1ELi3EEviiiPKT0_S5_PT_PKfS9_ii
	.p2align	8
	.type	_Z13wvSplitKQ_hf_I14__hip_bfloat16N3c1015Float8_e4m3fnuzELi64ELi7ELi16ELi16ELi1ELi3EEviiiPKT0_S5_PT_PKfS9_ii,@function
_Z13wvSplitKQ_hf_I14__hip_bfloat16N3c1015Float8_e4m3fnuzELi64ELi7ELi16ELi16ELi1ELi3EEviiiPKT0_S5_PT_PKfS9_ii: ; @_Z13wvSplitKQ_hf_I14__hip_bfloat16N3c1015Float8_e4m3fnuzELi64ELi7ELi16ELi16ELi1ELi3EEviiiPKT0_S5_PT_PKfS9_ii
; %bb.0:
	s_add_u32 s6, s6, s9
	s_mov_b32 s32, 0
	s_addc_u32 s7, s7, 0
	s_setreg_b32 hwreg(HW_REG_FLAT_SCR_LO), s6
	s_setreg_b32 hwreg(HW_REG_FLAT_SCR_HI), s7
	s_add_u32 s0, s0, s9
	s_addc_u32 s1, s1, 0
	s_add_u32 s8, s4, 64
	s_addc_u32 s9, s5, 0
	s_getpc_b64 s[4:5]
	s_add_u32 s4, s4, __PRETTY_FUNCTION__._Z13wvSplitKQ_hf_I14__hip_bfloat16N3c1015Float8_e4m3fnuzELi64ELi7ELi16ELi16ELi1ELi3EEviiiPKT0_S5_PT_PKfS9_ii@rel32@lo+4
	s_addc_u32 s5, s5, __PRETTY_FUNCTION__._Z13wvSplitKQ_hf_I14__hip_bfloat16N3c1015Float8_e4m3fnuzELi64ELi7ELi16ELi16ELi1ELi3EEviiiPKT0_S5_PT_PKfS9_ii@rel32@hi+12
	v_mov_b32_e32 v0, 0x66e
	v_mov_b32_e32 v1, s4
	;; [unrolled: 1-line block ×3, first 2 shown]
	s_getpc_b64 s[6:7]
	s_add_u32 s6, s6, __assert_fail@rel32@lo+4
	s_addc_u32 s7, s7, __assert_fail@rel32@hi+12
	s_swappc_b64 s[30:31], s[6:7]
	.section	.rodata,"a",@progbits
	.p2align	6, 0x0
	.amdhsa_kernel _Z13wvSplitKQ_hf_I14__hip_bfloat16N3c1015Float8_e4m3fnuzELi64ELi7ELi16ELi16ELi1ELi3EEviiiPKT0_S5_PT_PKfS9_ii
		.amdhsa_group_segment_fixed_size 0
		.amdhsa_private_segment_fixed_size 64
		.amdhsa_kernarg_size 320
		.amdhsa_user_sgpr_count 8
		.amdhsa_user_sgpr_private_segment_buffer 1
		.amdhsa_user_sgpr_dispatch_ptr 0
		.amdhsa_user_sgpr_queue_ptr 0
		.amdhsa_user_sgpr_kernarg_segment_ptr 1
		.amdhsa_user_sgpr_dispatch_id 0
		.amdhsa_user_sgpr_flat_scratch_init 1
		.amdhsa_user_sgpr_private_segment_size 0
		.amdhsa_wavefront_size32 1
		.amdhsa_uses_dynamic_stack 0
		.amdhsa_system_sgpr_private_segment_wavefront_offset 1
		.amdhsa_system_sgpr_workgroup_id_x 1
		.amdhsa_system_sgpr_workgroup_id_y 0
		.amdhsa_system_sgpr_workgroup_id_z 0
		.amdhsa_system_sgpr_workgroup_info 0
		.amdhsa_system_vgpr_workitem_id 0
		.amdhsa_next_free_vgpr 41
		.amdhsa_next_free_sgpr 34
		.amdhsa_reserve_vcc 1
		.amdhsa_reserve_flat_scratch 1
		.amdhsa_float_round_mode_32 0
		.amdhsa_float_round_mode_16_64 0
		.amdhsa_float_denorm_mode_32 3
		.amdhsa_float_denorm_mode_16_64 3
		.amdhsa_dx10_clamp 1
		.amdhsa_ieee_mode 1
		.amdhsa_fp16_overflow 0
		.amdhsa_workgroup_processor_mode 1
		.amdhsa_memory_ordered 1
		.amdhsa_forward_progress 1
		.amdhsa_shared_vgpr_count 0
		.amdhsa_exception_fp_ieee_invalid_op 0
		.amdhsa_exception_fp_denorm_src 0
		.amdhsa_exception_fp_ieee_div_zero 0
		.amdhsa_exception_fp_ieee_overflow 0
		.amdhsa_exception_fp_ieee_underflow 0
		.amdhsa_exception_fp_ieee_inexact 0
		.amdhsa_exception_int_div_zero 0
	.end_amdhsa_kernel
	.section	.text._Z13wvSplitKQ_hf_I14__hip_bfloat16N3c1015Float8_e4m3fnuzELi64ELi7ELi16ELi16ELi1ELi3EEviiiPKT0_S5_PT_PKfS9_ii,"axG",@progbits,_Z13wvSplitKQ_hf_I14__hip_bfloat16N3c1015Float8_e4m3fnuzELi64ELi7ELi16ELi16ELi1ELi3EEviiiPKT0_S5_PT_PKfS9_ii,comdat
.Lfunc_end63:
	.size	_Z13wvSplitKQ_hf_I14__hip_bfloat16N3c1015Float8_e4m3fnuzELi64ELi7ELi16ELi16ELi1ELi3EEviiiPKT0_S5_PT_PKfS9_ii, .Lfunc_end63-_Z13wvSplitKQ_hf_I14__hip_bfloat16N3c1015Float8_e4m3fnuzELi64ELi7ELi16ELi16ELi1ELi3EEviiiPKT0_S5_PT_PKfS9_ii
                                        ; -- End function
	.set _Z13wvSplitKQ_hf_I14__hip_bfloat16N3c1015Float8_e4m3fnuzELi64ELi7ELi16ELi16ELi1ELi3EEviiiPKT0_S5_PT_PKfS9_ii.num_vgpr, max(3, .L__assert_fail.num_vgpr)
	.set _Z13wvSplitKQ_hf_I14__hip_bfloat16N3c1015Float8_e4m3fnuzELi64ELi7ELi16ELi16ELi1ELi3EEviiiPKT0_S5_PT_PKfS9_ii.num_agpr, max(0, .L__assert_fail.num_agpr)
	.set _Z13wvSplitKQ_hf_I14__hip_bfloat16N3c1015Float8_e4m3fnuzELi64ELi7ELi16ELi16ELi1ELi3EEviiiPKT0_S5_PT_PKfS9_ii.numbered_sgpr, max(33, .L__assert_fail.numbered_sgpr)
	.set _Z13wvSplitKQ_hf_I14__hip_bfloat16N3c1015Float8_e4m3fnuzELi64ELi7ELi16ELi16ELi1ELi3EEviiiPKT0_S5_PT_PKfS9_ii.num_named_barrier, max(0, .L__assert_fail.num_named_barrier)
	.set _Z13wvSplitKQ_hf_I14__hip_bfloat16N3c1015Float8_e4m3fnuzELi64ELi7ELi16ELi16ELi1ELi3EEviiiPKT0_S5_PT_PKfS9_ii.private_seg_size, 0+max(.L__assert_fail.private_seg_size)
	.set _Z13wvSplitKQ_hf_I14__hip_bfloat16N3c1015Float8_e4m3fnuzELi64ELi7ELi16ELi16ELi1ELi3EEviiiPKT0_S5_PT_PKfS9_ii.uses_vcc, or(1, .L__assert_fail.uses_vcc)
	.set _Z13wvSplitKQ_hf_I14__hip_bfloat16N3c1015Float8_e4m3fnuzELi64ELi7ELi16ELi16ELi1ELi3EEviiiPKT0_S5_PT_PKfS9_ii.uses_flat_scratch, or(1, .L__assert_fail.uses_flat_scratch)
	.set _Z13wvSplitKQ_hf_I14__hip_bfloat16N3c1015Float8_e4m3fnuzELi64ELi7ELi16ELi16ELi1ELi3EEviiiPKT0_S5_PT_PKfS9_ii.has_dyn_sized_stack, or(0, .L__assert_fail.has_dyn_sized_stack)
	.set _Z13wvSplitKQ_hf_I14__hip_bfloat16N3c1015Float8_e4m3fnuzELi64ELi7ELi16ELi16ELi1ELi3EEviiiPKT0_S5_PT_PKfS9_ii.has_recursion, or(0, .L__assert_fail.has_recursion)
	.set _Z13wvSplitKQ_hf_I14__hip_bfloat16N3c1015Float8_e4m3fnuzELi64ELi7ELi16ELi16ELi1ELi3EEviiiPKT0_S5_PT_PKfS9_ii.has_indirect_call, or(0, .L__assert_fail.has_indirect_call)
	.section	.AMDGPU.csdata,"",@progbits
; Kernel info:
; codeLenInByte = 96
; TotalNumSgprs: 36
; NumVgprs: 41
; ScratchSize: 64
; MemoryBound: 0
; FloatMode: 240
; IeeeMode: 1
; LDSByteSize: 0 bytes/workgroup (compile time only)
; SGPRBlocks: 0
; VGPRBlocks: 5
; NumSGPRsForWavesPerEU: 36
; NumVGPRsForWavesPerEU: 41
; Occupancy: 16
; WaveLimiterHint : 1
; COMPUTE_PGM_RSRC2:SCRATCH_EN: 1
; COMPUTE_PGM_RSRC2:USER_SGPR: 8
; COMPUTE_PGM_RSRC2:TRAP_HANDLER: 0
; COMPUTE_PGM_RSRC2:TGID_X_EN: 1
; COMPUTE_PGM_RSRC2:TGID_Y_EN: 0
; COMPUTE_PGM_RSRC2:TGID_Z_EN: 0
; COMPUTE_PGM_RSRC2:TIDIG_COMP_CNT: 0
	.section	.text._Z17wvSplitKQ_hf_sml_I14__hip_bfloat16N3c1015Float8_e4m3fnuzELi64ELi4ELi16ELi16ELi1ELi4EEviiiPKT0_S5_PT_PKfS9_ii,"axG",@progbits,_Z17wvSplitKQ_hf_sml_I14__hip_bfloat16N3c1015Float8_e4m3fnuzELi64ELi4ELi16ELi16ELi1ELi4EEviiiPKT0_S5_PT_PKfS9_ii,comdat
	.protected	_Z17wvSplitKQ_hf_sml_I14__hip_bfloat16N3c1015Float8_e4m3fnuzELi64ELi4ELi16ELi16ELi1ELi4EEviiiPKT0_S5_PT_PKfS9_ii ; -- Begin function _Z17wvSplitKQ_hf_sml_I14__hip_bfloat16N3c1015Float8_e4m3fnuzELi64ELi4ELi16ELi16ELi1ELi4EEviiiPKT0_S5_PT_PKfS9_ii
	.globl	_Z17wvSplitKQ_hf_sml_I14__hip_bfloat16N3c1015Float8_e4m3fnuzELi64ELi4ELi16ELi16ELi1ELi4EEviiiPKT0_S5_PT_PKfS9_ii
	.p2align	8
	.type	_Z17wvSplitKQ_hf_sml_I14__hip_bfloat16N3c1015Float8_e4m3fnuzELi64ELi4ELi16ELi16ELi1ELi4EEviiiPKT0_S5_PT_PKfS9_ii,@function
_Z17wvSplitKQ_hf_sml_I14__hip_bfloat16N3c1015Float8_e4m3fnuzELi64ELi4ELi16ELi16ELi1ELi4EEviiiPKT0_S5_PT_PKfS9_ii: ; @_Z17wvSplitKQ_hf_sml_I14__hip_bfloat16N3c1015Float8_e4m3fnuzELi64ELi4ELi16ELi16ELi1ELi4EEviiiPKT0_S5_PT_PKfS9_ii
; %bb.0:
	s_add_u32 s6, s6, s9
	s_mov_b32 s32, 0
	s_addc_u32 s7, s7, 0
	s_setreg_b32 hwreg(HW_REG_FLAT_SCR_LO), s6
	s_setreg_b32 hwreg(HW_REG_FLAT_SCR_HI), s7
	s_add_u32 s0, s0, s9
	s_addc_u32 s1, s1, 0
	s_add_u32 s8, s4, 64
	s_addc_u32 s9, s5, 0
	s_getpc_b64 s[4:5]
	s_add_u32 s4, s4, __PRETTY_FUNCTION__._Z17wvSplitKQ_hf_sml_I14__hip_bfloat16N3c1015Float8_e4m3fnuzELi64ELi4ELi16ELi16ELi1ELi4EEviiiPKT0_S5_PT_PKfS9_ii@rel32@lo+4
	s_addc_u32 s5, s5, __PRETTY_FUNCTION__._Z17wvSplitKQ_hf_sml_I14__hip_bfloat16N3c1015Float8_e4m3fnuzELi64ELi4ELi16ELi16ELi1ELi4EEviiiPKT0_S5_PT_PKfS9_ii@rel32@hi+12
	v_mov_b32_e32 v0, 0x5c1
	v_mov_b32_e32 v1, s4
	;; [unrolled: 1-line block ×3, first 2 shown]
	s_getpc_b64 s[6:7]
	s_add_u32 s6, s6, __assert_fail@rel32@lo+4
	s_addc_u32 s7, s7, __assert_fail@rel32@hi+12
	s_swappc_b64 s[30:31], s[6:7]
	.section	.rodata,"a",@progbits
	.p2align	6, 0x0
	.amdhsa_kernel _Z17wvSplitKQ_hf_sml_I14__hip_bfloat16N3c1015Float8_e4m3fnuzELi64ELi4ELi16ELi16ELi1ELi4EEviiiPKT0_S5_PT_PKfS9_ii
		.amdhsa_group_segment_fixed_size 0
		.amdhsa_private_segment_fixed_size 64
		.amdhsa_kernarg_size 320
		.amdhsa_user_sgpr_count 8
		.amdhsa_user_sgpr_private_segment_buffer 1
		.amdhsa_user_sgpr_dispatch_ptr 0
		.amdhsa_user_sgpr_queue_ptr 0
		.amdhsa_user_sgpr_kernarg_segment_ptr 1
		.amdhsa_user_sgpr_dispatch_id 0
		.amdhsa_user_sgpr_flat_scratch_init 1
		.amdhsa_user_sgpr_private_segment_size 0
		.amdhsa_wavefront_size32 1
		.amdhsa_uses_dynamic_stack 0
		.amdhsa_system_sgpr_private_segment_wavefront_offset 1
		.amdhsa_system_sgpr_workgroup_id_x 1
		.amdhsa_system_sgpr_workgroup_id_y 0
		.amdhsa_system_sgpr_workgroup_id_z 0
		.amdhsa_system_sgpr_workgroup_info 0
		.amdhsa_system_vgpr_workitem_id 0
		.amdhsa_next_free_vgpr 41
		.amdhsa_next_free_sgpr 34
		.amdhsa_reserve_vcc 1
		.amdhsa_reserve_flat_scratch 1
		.amdhsa_float_round_mode_32 0
		.amdhsa_float_round_mode_16_64 0
		.amdhsa_float_denorm_mode_32 3
		.amdhsa_float_denorm_mode_16_64 3
		.amdhsa_dx10_clamp 1
		.amdhsa_ieee_mode 1
		.amdhsa_fp16_overflow 0
		.amdhsa_workgroup_processor_mode 1
		.amdhsa_memory_ordered 1
		.amdhsa_forward_progress 1
		.amdhsa_shared_vgpr_count 0
		.amdhsa_exception_fp_ieee_invalid_op 0
		.amdhsa_exception_fp_denorm_src 0
		.amdhsa_exception_fp_ieee_div_zero 0
		.amdhsa_exception_fp_ieee_overflow 0
		.amdhsa_exception_fp_ieee_underflow 0
		.amdhsa_exception_fp_ieee_inexact 0
		.amdhsa_exception_int_div_zero 0
	.end_amdhsa_kernel
	.section	.text._Z17wvSplitKQ_hf_sml_I14__hip_bfloat16N3c1015Float8_e4m3fnuzELi64ELi4ELi16ELi16ELi1ELi4EEviiiPKT0_S5_PT_PKfS9_ii,"axG",@progbits,_Z17wvSplitKQ_hf_sml_I14__hip_bfloat16N3c1015Float8_e4m3fnuzELi64ELi4ELi16ELi16ELi1ELi4EEviiiPKT0_S5_PT_PKfS9_ii,comdat
.Lfunc_end64:
	.size	_Z17wvSplitKQ_hf_sml_I14__hip_bfloat16N3c1015Float8_e4m3fnuzELi64ELi4ELi16ELi16ELi1ELi4EEviiiPKT0_S5_PT_PKfS9_ii, .Lfunc_end64-_Z17wvSplitKQ_hf_sml_I14__hip_bfloat16N3c1015Float8_e4m3fnuzELi64ELi4ELi16ELi16ELi1ELi4EEviiiPKT0_S5_PT_PKfS9_ii
                                        ; -- End function
	.set _Z17wvSplitKQ_hf_sml_I14__hip_bfloat16N3c1015Float8_e4m3fnuzELi64ELi4ELi16ELi16ELi1ELi4EEviiiPKT0_S5_PT_PKfS9_ii.num_vgpr, max(3, .L__assert_fail.num_vgpr)
	.set _Z17wvSplitKQ_hf_sml_I14__hip_bfloat16N3c1015Float8_e4m3fnuzELi64ELi4ELi16ELi16ELi1ELi4EEviiiPKT0_S5_PT_PKfS9_ii.num_agpr, max(0, .L__assert_fail.num_agpr)
	.set _Z17wvSplitKQ_hf_sml_I14__hip_bfloat16N3c1015Float8_e4m3fnuzELi64ELi4ELi16ELi16ELi1ELi4EEviiiPKT0_S5_PT_PKfS9_ii.numbered_sgpr, max(33, .L__assert_fail.numbered_sgpr)
	.set _Z17wvSplitKQ_hf_sml_I14__hip_bfloat16N3c1015Float8_e4m3fnuzELi64ELi4ELi16ELi16ELi1ELi4EEviiiPKT0_S5_PT_PKfS9_ii.num_named_barrier, max(0, .L__assert_fail.num_named_barrier)
	.set _Z17wvSplitKQ_hf_sml_I14__hip_bfloat16N3c1015Float8_e4m3fnuzELi64ELi4ELi16ELi16ELi1ELi4EEviiiPKT0_S5_PT_PKfS9_ii.private_seg_size, 0+max(.L__assert_fail.private_seg_size)
	.set _Z17wvSplitKQ_hf_sml_I14__hip_bfloat16N3c1015Float8_e4m3fnuzELi64ELi4ELi16ELi16ELi1ELi4EEviiiPKT0_S5_PT_PKfS9_ii.uses_vcc, or(1, .L__assert_fail.uses_vcc)
	.set _Z17wvSplitKQ_hf_sml_I14__hip_bfloat16N3c1015Float8_e4m3fnuzELi64ELi4ELi16ELi16ELi1ELi4EEviiiPKT0_S5_PT_PKfS9_ii.uses_flat_scratch, or(1, .L__assert_fail.uses_flat_scratch)
	.set _Z17wvSplitKQ_hf_sml_I14__hip_bfloat16N3c1015Float8_e4m3fnuzELi64ELi4ELi16ELi16ELi1ELi4EEviiiPKT0_S5_PT_PKfS9_ii.has_dyn_sized_stack, or(0, .L__assert_fail.has_dyn_sized_stack)
	.set _Z17wvSplitKQ_hf_sml_I14__hip_bfloat16N3c1015Float8_e4m3fnuzELi64ELi4ELi16ELi16ELi1ELi4EEviiiPKT0_S5_PT_PKfS9_ii.has_recursion, or(0, .L__assert_fail.has_recursion)
	.set _Z17wvSplitKQ_hf_sml_I14__hip_bfloat16N3c1015Float8_e4m3fnuzELi64ELi4ELi16ELi16ELi1ELi4EEviiiPKT0_S5_PT_PKfS9_ii.has_indirect_call, or(0, .L__assert_fail.has_indirect_call)
	.section	.AMDGPU.csdata,"",@progbits
; Kernel info:
; codeLenInByte = 96
; TotalNumSgprs: 36
; NumVgprs: 41
; ScratchSize: 64
; MemoryBound: 0
; FloatMode: 240
; IeeeMode: 1
; LDSByteSize: 0 bytes/workgroup (compile time only)
; SGPRBlocks: 0
; VGPRBlocks: 5
; NumSGPRsForWavesPerEU: 36
; NumVGPRsForWavesPerEU: 41
; Occupancy: 16
; WaveLimiterHint : 1
; COMPUTE_PGM_RSRC2:SCRATCH_EN: 1
; COMPUTE_PGM_RSRC2:USER_SGPR: 8
; COMPUTE_PGM_RSRC2:TRAP_HANDLER: 0
; COMPUTE_PGM_RSRC2:TGID_X_EN: 1
; COMPUTE_PGM_RSRC2:TGID_Y_EN: 0
; COMPUTE_PGM_RSRC2:TGID_Z_EN: 0
; COMPUTE_PGM_RSRC2:TIDIG_COMP_CNT: 0
	.section	.text._Z13wvSplitKQ_hf_I14__hip_bfloat16N3c1015Float8_e4m3fnuzELi64ELi7ELi16ELi16ELi1ELi4EEviiiPKT0_S5_PT_PKfS9_ii,"axG",@progbits,_Z13wvSplitKQ_hf_I14__hip_bfloat16N3c1015Float8_e4m3fnuzELi64ELi7ELi16ELi16ELi1ELi4EEviiiPKT0_S5_PT_PKfS9_ii,comdat
	.protected	_Z13wvSplitKQ_hf_I14__hip_bfloat16N3c1015Float8_e4m3fnuzELi64ELi7ELi16ELi16ELi1ELi4EEviiiPKT0_S5_PT_PKfS9_ii ; -- Begin function _Z13wvSplitKQ_hf_I14__hip_bfloat16N3c1015Float8_e4m3fnuzELi64ELi7ELi16ELi16ELi1ELi4EEviiiPKT0_S5_PT_PKfS9_ii
	.globl	_Z13wvSplitKQ_hf_I14__hip_bfloat16N3c1015Float8_e4m3fnuzELi64ELi7ELi16ELi16ELi1ELi4EEviiiPKT0_S5_PT_PKfS9_ii
	.p2align	8
	.type	_Z13wvSplitKQ_hf_I14__hip_bfloat16N3c1015Float8_e4m3fnuzELi64ELi7ELi16ELi16ELi1ELi4EEviiiPKT0_S5_PT_PKfS9_ii,@function
_Z13wvSplitKQ_hf_I14__hip_bfloat16N3c1015Float8_e4m3fnuzELi64ELi7ELi16ELi16ELi1ELi4EEviiiPKT0_S5_PT_PKfS9_ii: ; @_Z13wvSplitKQ_hf_I14__hip_bfloat16N3c1015Float8_e4m3fnuzELi64ELi7ELi16ELi16ELi1ELi4EEviiiPKT0_S5_PT_PKfS9_ii
; %bb.0:
	s_add_u32 s6, s6, s9
	s_mov_b32 s32, 0
	s_addc_u32 s7, s7, 0
	s_setreg_b32 hwreg(HW_REG_FLAT_SCR_LO), s6
	s_setreg_b32 hwreg(HW_REG_FLAT_SCR_HI), s7
	s_add_u32 s0, s0, s9
	s_addc_u32 s1, s1, 0
	s_add_u32 s8, s4, 64
	s_addc_u32 s9, s5, 0
	s_getpc_b64 s[4:5]
	s_add_u32 s4, s4, __PRETTY_FUNCTION__._Z13wvSplitKQ_hf_I14__hip_bfloat16N3c1015Float8_e4m3fnuzELi64ELi7ELi16ELi16ELi1ELi4EEviiiPKT0_S5_PT_PKfS9_ii@rel32@lo+4
	s_addc_u32 s5, s5, __PRETTY_FUNCTION__._Z13wvSplitKQ_hf_I14__hip_bfloat16N3c1015Float8_e4m3fnuzELi64ELi7ELi16ELi16ELi1ELi4EEviiiPKT0_S5_PT_PKfS9_ii@rel32@hi+12
	v_mov_b32_e32 v0, 0x66e
	v_mov_b32_e32 v1, s4
	;; [unrolled: 1-line block ×3, first 2 shown]
	s_getpc_b64 s[6:7]
	s_add_u32 s6, s6, __assert_fail@rel32@lo+4
	s_addc_u32 s7, s7, __assert_fail@rel32@hi+12
	s_swappc_b64 s[30:31], s[6:7]
	.section	.rodata,"a",@progbits
	.p2align	6, 0x0
	.amdhsa_kernel _Z13wvSplitKQ_hf_I14__hip_bfloat16N3c1015Float8_e4m3fnuzELi64ELi7ELi16ELi16ELi1ELi4EEviiiPKT0_S5_PT_PKfS9_ii
		.amdhsa_group_segment_fixed_size 0
		.amdhsa_private_segment_fixed_size 64
		.amdhsa_kernarg_size 320
		.amdhsa_user_sgpr_count 8
		.amdhsa_user_sgpr_private_segment_buffer 1
		.amdhsa_user_sgpr_dispatch_ptr 0
		.amdhsa_user_sgpr_queue_ptr 0
		.amdhsa_user_sgpr_kernarg_segment_ptr 1
		.amdhsa_user_sgpr_dispatch_id 0
		.amdhsa_user_sgpr_flat_scratch_init 1
		.amdhsa_user_sgpr_private_segment_size 0
		.amdhsa_wavefront_size32 1
		.amdhsa_uses_dynamic_stack 0
		.amdhsa_system_sgpr_private_segment_wavefront_offset 1
		.amdhsa_system_sgpr_workgroup_id_x 1
		.amdhsa_system_sgpr_workgroup_id_y 0
		.amdhsa_system_sgpr_workgroup_id_z 0
		.amdhsa_system_sgpr_workgroup_info 0
		.amdhsa_system_vgpr_workitem_id 0
		.amdhsa_next_free_vgpr 41
		.amdhsa_next_free_sgpr 34
		.amdhsa_reserve_vcc 1
		.amdhsa_reserve_flat_scratch 1
		.amdhsa_float_round_mode_32 0
		.amdhsa_float_round_mode_16_64 0
		.amdhsa_float_denorm_mode_32 3
		.amdhsa_float_denorm_mode_16_64 3
		.amdhsa_dx10_clamp 1
		.amdhsa_ieee_mode 1
		.amdhsa_fp16_overflow 0
		.amdhsa_workgroup_processor_mode 1
		.amdhsa_memory_ordered 1
		.amdhsa_forward_progress 1
		.amdhsa_shared_vgpr_count 0
		.amdhsa_exception_fp_ieee_invalid_op 0
		.amdhsa_exception_fp_denorm_src 0
		.amdhsa_exception_fp_ieee_div_zero 0
		.amdhsa_exception_fp_ieee_overflow 0
		.amdhsa_exception_fp_ieee_underflow 0
		.amdhsa_exception_fp_ieee_inexact 0
		.amdhsa_exception_int_div_zero 0
	.end_amdhsa_kernel
	.section	.text._Z13wvSplitKQ_hf_I14__hip_bfloat16N3c1015Float8_e4m3fnuzELi64ELi7ELi16ELi16ELi1ELi4EEviiiPKT0_S5_PT_PKfS9_ii,"axG",@progbits,_Z13wvSplitKQ_hf_I14__hip_bfloat16N3c1015Float8_e4m3fnuzELi64ELi7ELi16ELi16ELi1ELi4EEviiiPKT0_S5_PT_PKfS9_ii,comdat
.Lfunc_end65:
	.size	_Z13wvSplitKQ_hf_I14__hip_bfloat16N3c1015Float8_e4m3fnuzELi64ELi7ELi16ELi16ELi1ELi4EEviiiPKT0_S5_PT_PKfS9_ii, .Lfunc_end65-_Z13wvSplitKQ_hf_I14__hip_bfloat16N3c1015Float8_e4m3fnuzELi64ELi7ELi16ELi16ELi1ELi4EEviiiPKT0_S5_PT_PKfS9_ii
                                        ; -- End function
	.set _Z13wvSplitKQ_hf_I14__hip_bfloat16N3c1015Float8_e4m3fnuzELi64ELi7ELi16ELi16ELi1ELi4EEviiiPKT0_S5_PT_PKfS9_ii.num_vgpr, max(3, .L__assert_fail.num_vgpr)
	.set _Z13wvSplitKQ_hf_I14__hip_bfloat16N3c1015Float8_e4m3fnuzELi64ELi7ELi16ELi16ELi1ELi4EEviiiPKT0_S5_PT_PKfS9_ii.num_agpr, max(0, .L__assert_fail.num_agpr)
	.set _Z13wvSplitKQ_hf_I14__hip_bfloat16N3c1015Float8_e4m3fnuzELi64ELi7ELi16ELi16ELi1ELi4EEviiiPKT0_S5_PT_PKfS9_ii.numbered_sgpr, max(33, .L__assert_fail.numbered_sgpr)
	.set _Z13wvSplitKQ_hf_I14__hip_bfloat16N3c1015Float8_e4m3fnuzELi64ELi7ELi16ELi16ELi1ELi4EEviiiPKT0_S5_PT_PKfS9_ii.num_named_barrier, max(0, .L__assert_fail.num_named_barrier)
	.set _Z13wvSplitKQ_hf_I14__hip_bfloat16N3c1015Float8_e4m3fnuzELi64ELi7ELi16ELi16ELi1ELi4EEviiiPKT0_S5_PT_PKfS9_ii.private_seg_size, 0+max(.L__assert_fail.private_seg_size)
	.set _Z13wvSplitKQ_hf_I14__hip_bfloat16N3c1015Float8_e4m3fnuzELi64ELi7ELi16ELi16ELi1ELi4EEviiiPKT0_S5_PT_PKfS9_ii.uses_vcc, or(1, .L__assert_fail.uses_vcc)
	.set _Z13wvSplitKQ_hf_I14__hip_bfloat16N3c1015Float8_e4m3fnuzELi64ELi7ELi16ELi16ELi1ELi4EEviiiPKT0_S5_PT_PKfS9_ii.uses_flat_scratch, or(1, .L__assert_fail.uses_flat_scratch)
	.set _Z13wvSplitKQ_hf_I14__hip_bfloat16N3c1015Float8_e4m3fnuzELi64ELi7ELi16ELi16ELi1ELi4EEviiiPKT0_S5_PT_PKfS9_ii.has_dyn_sized_stack, or(0, .L__assert_fail.has_dyn_sized_stack)
	.set _Z13wvSplitKQ_hf_I14__hip_bfloat16N3c1015Float8_e4m3fnuzELi64ELi7ELi16ELi16ELi1ELi4EEviiiPKT0_S5_PT_PKfS9_ii.has_recursion, or(0, .L__assert_fail.has_recursion)
	.set _Z13wvSplitKQ_hf_I14__hip_bfloat16N3c1015Float8_e4m3fnuzELi64ELi7ELi16ELi16ELi1ELi4EEviiiPKT0_S5_PT_PKfS9_ii.has_indirect_call, or(0, .L__assert_fail.has_indirect_call)
	.section	.AMDGPU.csdata,"",@progbits
; Kernel info:
; codeLenInByte = 96
; TotalNumSgprs: 36
; NumVgprs: 41
; ScratchSize: 64
; MemoryBound: 0
; FloatMode: 240
; IeeeMode: 1
; LDSByteSize: 0 bytes/workgroup (compile time only)
; SGPRBlocks: 0
; VGPRBlocks: 5
; NumSGPRsForWavesPerEU: 36
; NumVGPRsForWavesPerEU: 41
; Occupancy: 16
; WaveLimiterHint : 1
; COMPUTE_PGM_RSRC2:SCRATCH_EN: 1
; COMPUTE_PGM_RSRC2:USER_SGPR: 8
; COMPUTE_PGM_RSRC2:TRAP_HANDLER: 0
; COMPUTE_PGM_RSRC2:TGID_X_EN: 1
; COMPUTE_PGM_RSRC2:TGID_Y_EN: 0
; COMPUTE_PGM_RSRC2:TGID_Z_EN: 0
; COMPUTE_PGM_RSRC2:TIDIG_COMP_CNT: 0
	.text
	.p2alignl 6, 3214868480
	.fill 48, 4, 3214868480
	.section	.AMDGPU.gpr_maximums,"",@progbits
	.set amdgpu.max_num_vgpr, 41
	.set amdgpu.max_num_agpr, 0
	.set amdgpu.max_num_sgpr, 34
	.text
	.type	__const.__assert_fail.fmt,@object ; @__const.__assert_fail.fmt
	.section	.rodata.str1.16,"aMS",@progbits,1
	.p2align	4, 0x0
__const.__assert_fail.fmt:
	.asciz	"%s:%u: %s: Device-side assertion `%s' failed.\n"
	.size	__const.__assert_fail.fmt, 47

	.type	.str.3,@object                  ; @.str.3
	.section	.rodata.str1.1,"aMS",@progbits,1
.str.3:
	.asciz	"false"
	.size	.str.3, 6

	.type	.str.4,@object                  ; @.str.4
.str.4:
	.asciz	"/root/src/amdgpu-assembly/repos/ROCm__vllm/csrc/rocm/skinny_gemms.hip"
	.size	.str.4, 70

	.type	__PRETTY_FUNCTION__._Z16wvSplitK_hf_sml_I6__halfLi64ELi2ELi16ELi8ELi2ELi1EEviiPKT_S3_PS1_ii,@object ; @__PRETTY_FUNCTION__._Z16wvSplitK_hf_sml_I6__halfLi64ELi2ELi16ELi8ELi2ELi1EEviiPKT_S3_PS1_ii
__PRETTY_FUNCTION__._Z16wvSplitK_hf_sml_I6__halfLi64ELi2ELi16ELi8ELi2ELi1EEviiPKT_S3_PS1_ii:
	.asciz	"void wvSplitK_hf_sml_(const int, const int, const scalar_t *, const scalar_t *__restrict, scalar_t *, const int, const int) [scalar_t = __half, THRDS = 64, YTILE = 2, WvPrGrp = 16, A_CHUNK = 8, UNRL = 2, N = 1]"
	.size	__PRETTY_FUNCTION__._Z16wvSplitK_hf_sml_I6__halfLi64ELi2ELi16ELi8ELi2ELi1EEviiPKT_S3_PS1_ii, 211

	.type	__PRETTY_FUNCTION__._Z12wvSplitK_hf_I6__halfLi64ELi2ELi16ELi8ELi2ELi1EEviiPKT_S3_PS1_ii,@object ; @__PRETTY_FUNCTION__._Z12wvSplitK_hf_I6__halfLi64ELi2ELi16ELi8ELi2ELi1EEviiPKT_S3_PS1_ii
__PRETTY_FUNCTION__._Z12wvSplitK_hf_I6__halfLi64ELi2ELi16ELi8ELi2ELi1EEviiPKT_S3_PS1_ii:
	.asciz	"void wvSplitK_hf_(const int, const int, const scalar_t *, const scalar_t *__restrict, scalar_t *, const int, const int) [scalar_t = __half, THRDS = 64, YTILE = 2, WvPrGrp = 16, A_CHUNK = 8, UNRL = 2, N = 1]"
	.size	__PRETTY_FUNCTION__._Z12wvSplitK_hf_I6__halfLi64ELi2ELi16ELi8ELi2ELi1EEviiPKT_S3_PS1_ii, 207

	.type	__PRETTY_FUNCTION__._Z16wvSplitK_hf_big_I6__halfLi64ELi2ELi16ELi8ELi2ELi1EEviiPKT_S3_PS1_ii,@object ; @__PRETTY_FUNCTION__._Z16wvSplitK_hf_big_I6__halfLi64ELi2ELi16ELi8ELi2ELi1EEviiPKT_S3_PS1_ii
__PRETTY_FUNCTION__._Z16wvSplitK_hf_big_I6__halfLi64ELi2ELi16ELi8ELi2ELi1EEviiPKT_S3_PS1_ii:
	.asciz	"void wvSplitK_hf_big_(const int, const int, const scalar_t *, const scalar_t *__restrict, scalar_t *, const int, const int) [scalar_t = __half, THRDS = 64, YTILE = 2, WvPrGrp = 16, A_CHUNK = 8, UNRL = 2, N = 1]"
	.size	__PRETTY_FUNCTION__._Z16wvSplitK_hf_big_I6__halfLi64ELi2ELi16ELi8ELi2ELi1EEviiPKT_S3_PS1_ii, 211

	.type	__PRETTY_FUNCTION__._Z16wvSplitK_hf_sml_I6__halfLi64ELi2ELi16ELi8ELi2ELi2EEviiPKT_S3_PS1_ii,@object ; @__PRETTY_FUNCTION__._Z16wvSplitK_hf_sml_I6__halfLi64ELi2ELi16ELi8ELi2ELi2EEviiPKT_S3_PS1_ii
__PRETTY_FUNCTION__._Z16wvSplitK_hf_sml_I6__halfLi64ELi2ELi16ELi8ELi2ELi2EEviiPKT_S3_PS1_ii:
	.asciz	"void wvSplitK_hf_sml_(const int, const int, const scalar_t *, const scalar_t *__restrict, scalar_t *, const int, const int) [scalar_t = __half, THRDS = 64, YTILE = 2, WvPrGrp = 16, A_CHUNK = 8, UNRL = 2, N = 2]"
	.size	__PRETTY_FUNCTION__._Z16wvSplitK_hf_sml_I6__halfLi64ELi2ELi16ELi8ELi2ELi2EEviiPKT_S3_PS1_ii, 211

	.type	__PRETTY_FUNCTION__._Z12wvSplitK_hf_I6__halfLi64ELi2ELi16ELi8ELi2ELi2EEviiPKT_S3_PS1_ii,@object ; @__PRETTY_FUNCTION__._Z12wvSplitK_hf_I6__halfLi64ELi2ELi16ELi8ELi2ELi2EEviiPKT_S3_PS1_ii
__PRETTY_FUNCTION__._Z12wvSplitK_hf_I6__halfLi64ELi2ELi16ELi8ELi2ELi2EEviiPKT_S3_PS1_ii:
	.asciz	"void wvSplitK_hf_(const int, const int, const scalar_t *, const scalar_t *__restrict, scalar_t *, const int, const int) [scalar_t = __half, THRDS = 64, YTILE = 2, WvPrGrp = 16, A_CHUNK = 8, UNRL = 2, N = 2]"
	.size	__PRETTY_FUNCTION__._Z12wvSplitK_hf_I6__halfLi64ELi2ELi16ELi8ELi2ELi2EEviiPKT_S3_PS1_ii, 207

	.type	__PRETTY_FUNCTION__._Z16wvSplitK_hf_big_I6__halfLi64ELi2ELi16ELi8ELi2ELi2EEviiPKT_S3_PS1_ii,@object ; @__PRETTY_FUNCTION__._Z16wvSplitK_hf_big_I6__halfLi64ELi2ELi16ELi8ELi2ELi2EEviiPKT_S3_PS1_ii
__PRETTY_FUNCTION__._Z16wvSplitK_hf_big_I6__halfLi64ELi2ELi16ELi8ELi2ELi2EEviiPKT_S3_PS1_ii:
	.asciz	"void wvSplitK_hf_big_(const int, const int, const scalar_t *, const scalar_t *__restrict, scalar_t *, const int, const int) [scalar_t = __half, THRDS = 64, YTILE = 2, WvPrGrp = 16, A_CHUNK = 8, UNRL = 2, N = 2]"
	.size	__PRETTY_FUNCTION__._Z16wvSplitK_hf_big_I6__halfLi64ELi2ELi16ELi8ELi2ELi2EEviiPKT_S3_PS1_ii, 211

	.type	__PRETTY_FUNCTION__._Z16wvSplitK_hf_sml_I6__halfLi64ELi4ELi16ELi8ELi1ELi3EEviiPKT_S3_PS1_ii,@object ; @__PRETTY_FUNCTION__._Z16wvSplitK_hf_sml_I6__halfLi64ELi4ELi16ELi8ELi1ELi3EEviiPKT_S3_PS1_ii
__PRETTY_FUNCTION__._Z16wvSplitK_hf_sml_I6__halfLi64ELi4ELi16ELi8ELi1ELi3EEviiPKT_S3_PS1_ii:
	.asciz	"void wvSplitK_hf_sml_(const int, const int, const scalar_t *, const scalar_t *__restrict, scalar_t *, const int, const int) [scalar_t = __half, THRDS = 64, YTILE = 4, WvPrGrp = 16, A_CHUNK = 8, UNRL = 1, N = 3]"
	.size	__PRETTY_FUNCTION__._Z16wvSplitK_hf_sml_I6__halfLi64ELi4ELi16ELi8ELi1ELi3EEviiPKT_S3_PS1_ii, 211

	.type	__PRETTY_FUNCTION__._Z12wvSplitK_hf_I6__halfLi64ELi7ELi16ELi8ELi1ELi3EEviiPKT_S3_PS1_ii,@object ; @__PRETTY_FUNCTION__._Z12wvSplitK_hf_I6__halfLi64ELi7ELi16ELi8ELi1ELi3EEviiPKT_S3_PS1_ii
__PRETTY_FUNCTION__._Z12wvSplitK_hf_I6__halfLi64ELi7ELi16ELi8ELi1ELi3EEviiPKT_S3_PS1_ii:
	.asciz	"void wvSplitK_hf_(const int, const int, const scalar_t *, const scalar_t *__restrict, scalar_t *, const int, const int) [scalar_t = __half, THRDS = 64, YTILE = 7, WvPrGrp = 16, A_CHUNK = 8, UNRL = 1, N = 3]"
	.size	__PRETTY_FUNCTION__._Z12wvSplitK_hf_I6__halfLi64ELi7ELi16ELi8ELi1ELi3EEviiPKT_S3_PS1_ii, 207

	.type	__PRETTY_FUNCTION__._Z16wvSplitK_hf_big_I6__halfLi64ELi7ELi16ELi8ELi1ELi3EEviiPKT_S3_PS1_ii,@object ; @__PRETTY_FUNCTION__._Z16wvSplitK_hf_big_I6__halfLi64ELi7ELi16ELi8ELi1ELi3EEviiPKT_S3_PS1_ii
__PRETTY_FUNCTION__._Z16wvSplitK_hf_big_I6__halfLi64ELi7ELi16ELi8ELi1ELi3EEviiPKT_S3_PS1_ii:
	.asciz	"void wvSplitK_hf_big_(const int, const int, const scalar_t *, const scalar_t *__restrict, scalar_t *, const int, const int) [scalar_t = __half, THRDS = 64, YTILE = 7, WvPrGrp = 16, A_CHUNK = 8, UNRL = 1, N = 3]"
	.size	__PRETTY_FUNCTION__._Z16wvSplitK_hf_big_I6__halfLi64ELi7ELi16ELi8ELi1ELi3EEviiPKT_S3_PS1_ii, 211

	.type	__PRETTY_FUNCTION__._Z16wvSplitK_hf_sml_I6__halfLi64ELi4ELi16ELi8ELi1ELi4EEviiPKT_S3_PS1_ii,@object ; @__PRETTY_FUNCTION__._Z16wvSplitK_hf_sml_I6__halfLi64ELi4ELi16ELi8ELi1ELi4EEviiPKT_S3_PS1_ii
__PRETTY_FUNCTION__._Z16wvSplitK_hf_sml_I6__halfLi64ELi4ELi16ELi8ELi1ELi4EEviiPKT_S3_PS1_ii:
	.asciz	"void wvSplitK_hf_sml_(const int, const int, const scalar_t *, const scalar_t *__restrict, scalar_t *, const int, const int) [scalar_t = __half, THRDS = 64, YTILE = 4, WvPrGrp = 16, A_CHUNK = 8, UNRL = 1, N = 4]"
	.size	__PRETTY_FUNCTION__._Z16wvSplitK_hf_sml_I6__halfLi64ELi4ELi16ELi8ELi1ELi4EEviiPKT_S3_PS1_ii, 211

	.type	__PRETTY_FUNCTION__._Z12wvSplitK_hf_I6__halfLi64ELi7ELi16ELi8ELi1ELi4EEviiPKT_S3_PS1_ii,@object ; @__PRETTY_FUNCTION__._Z12wvSplitK_hf_I6__halfLi64ELi7ELi16ELi8ELi1ELi4EEviiPKT_S3_PS1_ii
__PRETTY_FUNCTION__._Z12wvSplitK_hf_I6__halfLi64ELi7ELi16ELi8ELi1ELi4EEviiPKT_S3_PS1_ii:
	.asciz	"void wvSplitK_hf_(const int, const int, const scalar_t *, const scalar_t *__restrict, scalar_t *, const int, const int) [scalar_t = __half, THRDS = 64, YTILE = 7, WvPrGrp = 16, A_CHUNK = 8, UNRL = 1, N = 4]"
	.size	__PRETTY_FUNCTION__._Z12wvSplitK_hf_I6__halfLi64ELi7ELi16ELi8ELi1ELi4EEviiPKT_S3_PS1_ii, 207

	.type	__PRETTY_FUNCTION__._Z16wvSplitK_hf_big_I6__halfLi64ELi7ELi16ELi8ELi1ELi4EEviiPKT_S3_PS1_ii,@object ; @__PRETTY_FUNCTION__._Z16wvSplitK_hf_big_I6__halfLi64ELi7ELi16ELi8ELi1ELi4EEviiPKT_S3_PS1_ii
__PRETTY_FUNCTION__._Z16wvSplitK_hf_big_I6__halfLi64ELi7ELi16ELi8ELi1ELi4EEviiPKT_S3_PS1_ii:
	.asciz	"void wvSplitK_hf_big_(const int, const int, const scalar_t *, const scalar_t *__restrict, scalar_t *, const int, const int) [scalar_t = __half, THRDS = 64, YTILE = 7, WvPrGrp = 16, A_CHUNK = 8, UNRL = 1, N = 4]"
	.size	__PRETTY_FUNCTION__._Z16wvSplitK_hf_big_I6__halfLi64ELi7ELi16ELi8ELi1ELi4EEviiPKT_S3_PS1_ii, 211

	.type	__PRETTY_FUNCTION__._Z16wvSplitK_hf_sml_I14__hip_bfloat16Li64ELi2ELi16ELi8ELi2ELi1EEviiPKT_S3_PS1_ii,@object ; @__PRETTY_FUNCTION__._Z16wvSplitK_hf_sml_I14__hip_bfloat16Li64ELi2ELi16ELi8ELi2ELi1EEviiPKT_S3_PS1_ii
__PRETTY_FUNCTION__._Z16wvSplitK_hf_sml_I14__hip_bfloat16Li64ELi2ELi16ELi8ELi2ELi1EEviiPKT_S3_PS1_ii:
	.asciz	"void wvSplitK_hf_sml_(const int, const int, const scalar_t *, const scalar_t *__restrict, scalar_t *, const int, const int) [scalar_t = __hip_bfloat16, THRDS = 64, YTILE = 2, WvPrGrp = 16, A_CHUNK = 8, UNRL = 2, N = 1]"
	.size	__PRETTY_FUNCTION__._Z16wvSplitK_hf_sml_I14__hip_bfloat16Li64ELi2ELi16ELi8ELi2ELi1EEviiPKT_S3_PS1_ii, 219

	.type	__PRETTY_FUNCTION__._Z12wvSplitK_hf_I14__hip_bfloat16Li64ELi2ELi16ELi8ELi2ELi1EEviiPKT_S3_PS1_ii,@object ; @__PRETTY_FUNCTION__._Z12wvSplitK_hf_I14__hip_bfloat16Li64ELi2ELi16ELi8ELi2ELi1EEviiPKT_S3_PS1_ii
__PRETTY_FUNCTION__._Z12wvSplitK_hf_I14__hip_bfloat16Li64ELi2ELi16ELi8ELi2ELi1EEviiPKT_S3_PS1_ii:
	.asciz	"void wvSplitK_hf_(const int, const int, const scalar_t *, const scalar_t *__restrict, scalar_t *, const int, const int) [scalar_t = __hip_bfloat16, THRDS = 64, YTILE = 2, WvPrGrp = 16, A_CHUNK = 8, UNRL = 2, N = 1]"
	.size	__PRETTY_FUNCTION__._Z12wvSplitK_hf_I14__hip_bfloat16Li64ELi2ELi16ELi8ELi2ELi1EEviiPKT_S3_PS1_ii, 215

	.type	__PRETTY_FUNCTION__._Z16wvSplitK_hf_big_I14__hip_bfloat16Li64ELi2ELi16ELi8ELi2ELi1EEviiPKT_S3_PS1_ii,@object ; @__PRETTY_FUNCTION__._Z16wvSplitK_hf_big_I14__hip_bfloat16Li64ELi2ELi16ELi8ELi2ELi1EEviiPKT_S3_PS1_ii
__PRETTY_FUNCTION__._Z16wvSplitK_hf_big_I14__hip_bfloat16Li64ELi2ELi16ELi8ELi2ELi1EEviiPKT_S3_PS1_ii:
	.asciz	"void wvSplitK_hf_big_(const int, const int, const scalar_t *, const scalar_t *__restrict, scalar_t *, const int, const int) [scalar_t = __hip_bfloat16, THRDS = 64, YTILE = 2, WvPrGrp = 16, A_CHUNK = 8, UNRL = 2, N = 1]"
	.size	__PRETTY_FUNCTION__._Z16wvSplitK_hf_big_I14__hip_bfloat16Li64ELi2ELi16ELi8ELi2ELi1EEviiPKT_S3_PS1_ii, 219

	.type	__PRETTY_FUNCTION__._Z16wvSplitK_hf_sml_I14__hip_bfloat16Li64ELi2ELi16ELi8ELi2ELi2EEviiPKT_S3_PS1_ii,@object ; @__PRETTY_FUNCTION__._Z16wvSplitK_hf_sml_I14__hip_bfloat16Li64ELi2ELi16ELi8ELi2ELi2EEviiPKT_S3_PS1_ii
__PRETTY_FUNCTION__._Z16wvSplitK_hf_sml_I14__hip_bfloat16Li64ELi2ELi16ELi8ELi2ELi2EEviiPKT_S3_PS1_ii:
	.asciz	"void wvSplitK_hf_sml_(const int, const int, const scalar_t *, const scalar_t *__restrict, scalar_t *, const int, const int) [scalar_t = __hip_bfloat16, THRDS = 64, YTILE = 2, WvPrGrp = 16, A_CHUNK = 8, UNRL = 2, N = 2]"
	.size	__PRETTY_FUNCTION__._Z16wvSplitK_hf_sml_I14__hip_bfloat16Li64ELi2ELi16ELi8ELi2ELi2EEviiPKT_S3_PS1_ii, 219

	.type	__PRETTY_FUNCTION__._Z12wvSplitK_hf_I14__hip_bfloat16Li64ELi2ELi16ELi8ELi2ELi2EEviiPKT_S3_PS1_ii,@object ; @__PRETTY_FUNCTION__._Z12wvSplitK_hf_I14__hip_bfloat16Li64ELi2ELi16ELi8ELi2ELi2EEviiPKT_S3_PS1_ii
__PRETTY_FUNCTION__._Z12wvSplitK_hf_I14__hip_bfloat16Li64ELi2ELi16ELi8ELi2ELi2EEviiPKT_S3_PS1_ii:
	.asciz	"void wvSplitK_hf_(const int, const int, const scalar_t *, const scalar_t *__restrict, scalar_t *, const int, const int) [scalar_t = __hip_bfloat16, THRDS = 64, YTILE = 2, WvPrGrp = 16, A_CHUNK = 8, UNRL = 2, N = 2]"
	.size	__PRETTY_FUNCTION__._Z12wvSplitK_hf_I14__hip_bfloat16Li64ELi2ELi16ELi8ELi2ELi2EEviiPKT_S3_PS1_ii, 215

	.type	__PRETTY_FUNCTION__._Z16wvSplitK_hf_big_I14__hip_bfloat16Li64ELi2ELi16ELi8ELi2ELi2EEviiPKT_S3_PS1_ii,@object ; @__PRETTY_FUNCTION__._Z16wvSplitK_hf_big_I14__hip_bfloat16Li64ELi2ELi16ELi8ELi2ELi2EEviiPKT_S3_PS1_ii
__PRETTY_FUNCTION__._Z16wvSplitK_hf_big_I14__hip_bfloat16Li64ELi2ELi16ELi8ELi2ELi2EEviiPKT_S3_PS1_ii:
	.asciz	"void wvSplitK_hf_big_(const int, const int, const scalar_t *, const scalar_t *__restrict, scalar_t *, const int, const int) [scalar_t = __hip_bfloat16, THRDS = 64, YTILE = 2, WvPrGrp = 16, A_CHUNK = 8, UNRL = 2, N = 2]"
	.size	__PRETTY_FUNCTION__._Z16wvSplitK_hf_big_I14__hip_bfloat16Li64ELi2ELi16ELi8ELi2ELi2EEviiPKT_S3_PS1_ii, 219

	.type	__PRETTY_FUNCTION__._Z16wvSplitK_hf_sml_I14__hip_bfloat16Li64ELi4ELi16ELi8ELi1ELi3EEviiPKT_S3_PS1_ii,@object ; @__PRETTY_FUNCTION__._Z16wvSplitK_hf_sml_I14__hip_bfloat16Li64ELi4ELi16ELi8ELi1ELi3EEviiPKT_S3_PS1_ii
__PRETTY_FUNCTION__._Z16wvSplitK_hf_sml_I14__hip_bfloat16Li64ELi4ELi16ELi8ELi1ELi3EEviiPKT_S3_PS1_ii:
	.asciz	"void wvSplitK_hf_sml_(const int, const int, const scalar_t *, const scalar_t *__restrict, scalar_t *, const int, const int) [scalar_t = __hip_bfloat16, THRDS = 64, YTILE = 4, WvPrGrp = 16, A_CHUNK = 8, UNRL = 1, N = 3]"
	.size	__PRETTY_FUNCTION__._Z16wvSplitK_hf_sml_I14__hip_bfloat16Li64ELi4ELi16ELi8ELi1ELi3EEviiPKT_S3_PS1_ii, 219

	.type	__PRETTY_FUNCTION__._Z12wvSplitK_hf_I14__hip_bfloat16Li64ELi7ELi16ELi8ELi1ELi3EEviiPKT_S3_PS1_ii,@object ; @__PRETTY_FUNCTION__._Z12wvSplitK_hf_I14__hip_bfloat16Li64ELi7ELi16ELi8ELi1ELi3EEviiPKT_S3_PS1_ii
__PRETTY_FUNCTION__._Z12wvSplitK_hf_I14__hip_bfloat16Li64ELi7ELi16ELi8ELi1ELi3EEviiPKT_S3_PS1_ii:
	.asciz	"void wvSplitK_hf_(const int, const int, const scalar_t *, const scalar_t *__restrict, scalar_t *, const int, const int) [scalar_t = __hip_bfloat16, THRDS = 64, YTILE = 7, WvPrGrp = 16, A_CHUNK = 8, UNRL = 1, N = 3]"
	.size	__PRETTY_FUNCTION__._Z12wvSplitK_hf_I14__hip_bfloat16Li64ELi7ELi16ELi8ELi1ELi3EEviiPKT_S3_PS1_ii, 215

	.type	__PRETTY_FUNCTION__._Z16wvSplitK_hf_big_I14__hip_bfloat16Li64ELi7ELi16ELi8ELi1ELi3EEviiPKT_S3_PS1_ii,@object ; @__PRETTY_FUNCTION__._Z16wvSplitK_hf_big_I14__hip_bfloat16Li64ELi7ELi16ELi8ELi1ELi3EEviiPKT_S3_PS1_ii
__PRETTY_FUNCTION__._Z16wvSplitK_hf_big_I14__hip_bfloat16Li64ELi7ELi16ELi8ELi1ELi3EEviiPKT_S3_PS1_ii:
	.asciz	"void wvSplitK_hf_big_(const int, const int, const scalar_t *, const scalar_t *__restrict, scalar_t *, const int, const int) [scalar_t = __hip_bfloat16, THRDS = 64, YTILE = 7, WvPrGrp = 16, A_CHUNK = 8, UNRL = 1, N = 3]"
	.size	__PRETTY_FUNCTION__._Z16wvSplitK_hf_big_I14__hip_bfloat16Li64ELi7ELi16ELi8ELi1ELi3EEviiPKT_S3_PS1_ii, 219

	.type	__PRETTY_FUNCTION__._Z16wvSplitK_hf_sml_I14__hip_bfloat16Li64ELi4ELi16ELi8ELi1ELi4EEviiPKT_S3_PS1_ii,@object ; @__PRETTY_FUNCTION__._Z16wvSplitK_hf_sml_I14__hip_bfloat16Li64ELi4ELi16ELi8ELi1ELi4EEviiPKT_S3_PS1_ii
__PRETTY_FUNCTION__._Z16wvSplitK_hf_sml_I14__hip_bfloat16Li64ELi4ELi16ELi8ELi1ELi4EEviiPKT_S3_PS1_ii:
	.asciz	"void wvSplitK_hf_sml_(const int, const int, const scalar_t *, const scalar_t *__restrict, scalar_t *, const int, const int) [scalar_t = __hip_bfloat16, THRDS = 64, YTILE = 4, WvPrGrp = 16, A_CHUNK = 8, UNRL = 1, N = 4]"
	.size	__PRETTY_FUNCTION__._Z16wvSplitK_hf_sml_I14__hip_bfloat16Li64ELi4ELi16ELi8ELi1ELi4EEviiPKT_S3_PS1_ii, 219

	.type	__PRETTY_FUNCTION__._Z12wvSplitK_hf_I14__hip_bfloat16Li64ELi7ELi16ELi8ELi1ELi4EEviiPKT_S3_PS1_ii,@object ; @__PRETTY_FUNCTION__._Z12wvSplitK_hf_I14__hip_bfloat16Li64ELi7ELi16ELi8ELi1ELi4EEviiPKT_S3_PS1_ii
__PRETTY_FUNCTION__._Z12wvSplitK_hf_I14__hip_bfloat16Li64ELi7ELi16ELi8ELi1ELi4EEviiPKT_S3_PS1_ii:
	.asciz	"void wvSplitK_hf_(const int, const int, const scalar_t *, const scalar_t *__restrict, scalar_t *, const int, const int) [scalar_t = __hip_bfloat16, THRDS = 64, YTILE = 7, WvPrGrp = 16, A_CHUNK = 8, UNRL = 1, N = 4]"
	.size	__PRETTY_FUNCTION__._Z12wvSplitK_hf_I14__hip_bfloat16Li64ELi7ELi16ELi8ELi1ELi4EEviiPKT_S3_PS1_ii, 215

	.type	__PRETTY_FUNCTION__._Z16wvSplitK_hf_big_I14__hip_bfloat16Li64ELi7ELi16ELi8ELi1ELi4EEviiPKT_S3_PS1_ii,@object ; @__PRETTY_FUNCTION__._Z16wvSplitK_hf_big_I14__hip_bfloat16Li64ELi7ELi16ELi8ELi1ELi4EEviiPKT_S3_PS1_ii
__PRETTY_FUNCTION__._Z16wvSplitK_hf_big_I14__hip_bfloat16Li64ELi7ELi16ELi8ELi1ELi4EEviiPKT_S3_PS1_ii:
	.asciz	"void wvSplitK_hf_big_(const int, const int, const scalar_t *, const scalar_t *__restrict, scalar_t *, const int, const int) [scalar_t = __hip_bfloat16, THRDS = 64, YTILE = 7, WvPrGrp = 16, A_CHUNK = 8, UNRL = 1, N = 4]"
	.size	__PRETTY_FUNCTION__._Z16wvSplitK_hf_big_I14__hip_bfloat16Li64ELi7ELi16ELi8ELi1ELi4EEviiPKT_S3_PS1_ii, 219

	.type	__PRETTY_FUNCTION__._Z17wvSplitKQ_hf_sml_I6__halfN3c1013Float8_e4m3fnELi64ELi2ELi16ELi16ELi2ELi1EEviiiPKT0_S5_PT_PKfS9_ii,@object ; @__PRETTY_FUNCTION__._Z17wvSplitKQ_hf_sml_I6__halfN3c1013Float8_e4m3fnELi64ELi2ELi16ELi16ELi2ELi1EEviiiPKT0_S5_PT_PKfS9_ii
__PRETTY_FUNCTION__._Z17wvSplitKQ_hf_sml_I6__halfN3c1013Float8_e4m3fnELi64ELi2ELi16ELi16ELi2ELi1EEviiiPKT0_S5_PT_PKfS9_ii:
	.asciz	"void wvSplitKQ_hf_sml_(const int, const int, const int, const fp8_t *, const fp8_t *__restrict, scalar_t *, const float *__restrict, const float *__restrict, const int, const int) [scalar_t = __half, fp8_t = c10::Float8_e4m3fn, THRDS = 64, YTILE = 2, WvPrGrp = 16, A_CHUNK = 16, UNRL = 2, N = 1]"
	.size	__PRETTY_FUNCTION__._Z17wvSplitKQ_hf_sml_I6__halfN3c1013Float8_e4m3fnELi64ELi2ELi16ELi16ELi2ELi1EEviiiPKT0_S5_PT_PKfS9_ii, 296

	.type	__PRETTY_FUNCTION__._Z13wvSplitKQ_hf_I6__halfN3c1013Float8_e4m3fnELi64ELi2ELi16ELi16ELi2ELi1EEviiiPKT0_S5_PT_PKfS9_ii,@object ; @__PRETTY_FUNCTION__._Z13wvSplitKQ_hf_I6__halfN3c1013Float8_e4m3fnELi64ELi2ELi16ELi16ELi2ELi1EEviiiPKT0_S5_PT_PKfS9_ii
__PRETTY_FUNCTION__._Z13wvSplitKQ_hf_I6__halfN3c1013Float8_e4m3fnELi64ELi2ELi16ELi16ELi2ELi1EEviiiPKT0_S5_PT_PKfS9_ii:
	.asciz	"void wvSplitKQ_hf_(const int, const int, const int, const fp8_t *, const fp8_t *__restrict, scalar_t *, const float *__restrict, const float *__restrict, const int, const int) [scalar_t = __half, fp8_t = c10::Float8_e4m3fn, THRDS = 64, YTILE = 2, WvPrGrp = 16, A_CHUNK = 16, UNRL = 2, N = 1]"
	.size	__PRETTY_FUNCTION__._Z13wvSplitKQ_hf_I6__halfN3c1013Float8_e4m3fnELi64ELi2ELi16ELi16ELi2ELi1EEviiiPKT0_S5_PT_PKfS9_ii, 292

	.type	__PRETTY_FUNCTION__._Z17wvSplitKQ_hf_sml_I6__halfN3c1013Float8_e4m3fnELi64ELi2ELi16ELi16ELi2ELi2EEviiiPKT0_S5_PT_PKfS9_ii,@object ; @__PRETTY_FUNCTION__._Z17wvSplitKQ_hf_sml_I6__halfN3c1013Float8_e4m3fnELi64ELi2ELi16ELi16ELi2ELi2EEviiiPKT0_S5_PT_PKfS9_ii
__PRETTY_FUNCTION__._Z17wvSplitKQ_hf_sml_I6__halfN3c1013Float8_e4m3fnELi64ELi2ELi16ELi16ELi2ELi2EEviiiPKT0_S5_PT_PKfS9_ii:
	.asciz	"void wvSplitKQ_hf_sml_(const int, const int, const int, const fp8_t *, const fp8_t *__restrict, scalar_t *, const float *__restrict, const float *__restrict, const int, const int) [scalar_t = __half, fp8_t = c10::Float8_e4m3fn, THRDS = 64, YTILE = 2, WvPrGrp = 16, A_CHUNK = 16, UNRL = 2, N = 2]"
	.size	__PRETTY_FUNCTION__._Z17wvSplitKQ_hf_sml_I6__halfN3c1013Float8_e4m3fnELi64ELi2ELi16ELi16ELi2ELi2EEviiiPKT0_S5_PT_PKfS9_ii, 296

	.type	__PRETTY_FUNCTION__._Z13wvSplitKQ_hf_I6__halfN3c1013Float8_e4m3fnELi64ELi2ELi16ELi16ELi2ELi2EEviiiPKT0_S5_PT_PKfS9_ii,@object ; @__PRETTY_FUNCTION__._Z13wvSplitKQ_hf_I6__halfN3c1013Float8_e4m3fnELi64ELi2ELi16ELi16ELi2ELi2EEviiiPKT0_S5_PT_PKfS9_ii
__PRETTY_FUNCTION__._Z13wvSplitKQ_hf_I6__halfN3c1013Float8_e4m3fnELi64ELi2ELi16ELi16ELi2ELi2EEviiiPKT0_S5_PT_PKfS9_ii:
	.asciz	"void wvSplitKQ_hf_(const int, const int, const int, const fp8_t *, const fp8_t *__restrict, scalar_t *, const float *__restrict, const float *__restrict, const int, const int) [scalar_t = __half, fp8_t = c10::Float8_e4m3fn, THRDS = 64, YTILE = 2, WvPrGrp = 16, A_CHUNK = 16, UNRL = 2, N = 2]"
	.size	__PRETTY_FUNCTION__._Z13wvSplitKQ_hf_I6__halfN3c1013Float8_e4m3fnELi64ELi2ELi16ELi16ELi2ELi2EEviiiPKT0_S5_PT_PKfS9_ii, 292

	.type	__PRETTY_FUNCTION__._Z17wvSplitKQ_hf_sml_I6__halfN3c1013Float8_e4m3fnELi64ELi4ELi16ELi16ELi1ELi3EEviiiPKT0_S5_PT_PKfS9_ii,@object ; @__PRETTY_FUNCTION__._Z17wvSplitKQ_hf_sml_I6__halfN3c1013Float8_e4m3fnELi64ELi4ELi16ELi16ELi1ELi3EEviiiPKT0_S5_PT_PKfS9_ii
__PRETTY_FUNCTION__._Z17wvSplitKQ_hf_sml_I6__halfN3c1013Float8_e4m3fnELi64ELi4ELi16ELi16ELi1ELi3EEviiiPKT0_S5_PT_PKfS9_ii:
	.asciz	"void wvSplitKQ_hf_sml_(const int, const int, const int, const fp8_t *, const fp8_t *__restrict, scalar_t *, const float *__restrict, const float *__restrict, const int, const int) [scalar_t = __half, fp8_t = c10::Float8_e4m3fn, THRDS = 64, YTILE = 4, WvPrGrp = 16, A_CHUNK = 16, UNRL = 1, N = 3]"
	.size	__PRETTY_FUNCTION__._Z17wvSplitKQ_hf_sml_I6__halfN3c1013Float8_e4m3fnELi64ELi4ELi16ELi16ELi1ELi3EEviiiPKT0_S5_PT_PKfS9_ii, 296

	.type	__PRETTY_FUNCTION__._Z13wvSplitKQ_hf_I6__halfN3c1013Float8_e4m3fnELi64ELi7ELi16ELi16ELi1ELi3EEviiiPKT0_S5_PT_PKfS9_ii,@object ; @__PRETTY_FUNCTION__._Z13wvSplitKQ_hf_I6__halfN3c1013Float8_e4m3fnELi64ELi7ELi16ELi16ELi1ELi3EEviiiPKT0_S5_PT_PKfS9_ii
__PRETTY_FUNCTION__._Z13wvSplitKQ_hf_I6__halfN3c1013Float8_e4m3fnELi64ELi7ELi16ELi16ELi1ELi3EEviiiPKT0_S5_PT_PKfS9_ii:
	.asciz	"void wvSplitKQ_hf_(const int, const int, const int, const fp8_t *, const fp8_t *__restrict, scalar_t *, const float *__restrict, const float *__restrict, const int, const int) [scalar_t = __half, fp8_t = c10::Float8_e4m3fn, THRDS = 64, YTILE = 7, WvPrGrp = 16, A_CHUNK = 16, UNRL = 1, N = 3]"
	.size	__PRETTY_FUNCTION__._Z13wvSplitKQ_hf_I6__halfN3c1013Float8_e4m3fnELi64ELi7ELi16ELi16ELi1ELi3EEviiiPKT0_S5_PT_PKfS9_ii, 292

	.type	__PRETTY_FUNCTION__._Z17wvSplitKQ_hf_sml_I6__halfN3c1013Float8_e4m3fnELi64ELi4ELi16ELi16ELi1ELi4EEviiiPKT0_S5_PT_PKfS9_ii,@object ; @__PRETTY_FUNCTION__._Z17wvSplitKQ_hf_sml_I6__halfN3c1013Float8_e4m3fnELi64ELi4ELi16ELi16ELi1ELi4EEviiiPKT0_S5_PT_PKfS9_ii
__PRETTY_FUNCTION__._Z17wvSplitKQ_hf_sml_I6__halfN3c1013Float8_e4m3fnELi64ELi4ELi16ELi16ELi1ELi4EEviiiPKT0_S5_PT_PKfS9_ii:
	.asciz	"void wvSplitKQ_hf_sml_(const int, const int, const int, const fp8_t *, const fp8_t *__restrict, scalar_t *, const float *__restrict, const float *__restrict, const int, const int) [scalar_t = __half, fp8_t = c10::Float8_e4m3fn, THRDS = 64, YTILE = 4, WvPrGrp = 16, A_CHUNK = 16, UNRL = 1, N = 4]"
	.size	__PRETTY_FUNCTION__._Z17wvSplitKQ_hf_sml_I6__halfN3c1013Float8_e4m3fnELi64ELi4ELi16ELi16ELi1ELi4EEviiiPKT0_S5_PT_PKfS9_ii, 296

	.type	__PRETTY_FUNCTION__._Z13wvSplitKQ_hf_I6__halfN3c1013Float8_e4m3fnELi64ELi7ELi16ELi16ELi1ELi4EEviiiPKT0_S5_PT_PKfS9_ii,@object ; @__PRETTY_FUNCTION__._Z13wvSplitKQ_hf_I6__halfN3c1013Float8_e4m3fnELi64ELi7ELi16ELi16ELi1ELi4EEviiiPKT0_S5_PT_PKfS9_ii
__PRETTY_FUNCTION__._Z13wvSplitKQ_hf_I6__halfN3c1013Float8_e4m3fnELi64ELi7ELi16ELi16ELi1ELi4EEviiiPKT0_S5_PT_PKfS9_ii:
	.asciz	"void wvSplitKQ_hf_(const int, const int, const int, const fp8_t *, const fp8_t *__restrict, scalar_t *, const float *__restrict, const float *__restrict, const int, const int) [scalar_t = __half, fp8_t = c10::Float8_e4m3fn, THRDS = 64, YTILE = 7, WvPrGrp = 16, A_CHUNK = 16, UNRL = 1, N = 4]"
	.size	__PRETTY_FUNCTION__._Z13wvSplitKQ_hf_I6__halfN3c1013Float8_e4m3fnELi64ELi7ELi16ELi16ELi1ELi4EEviiiPKT0_S5_PT_PKfS9_ii, 292

	.type	__PRETTY_FUNCTION__._Z17wvSplitKQ_hf_sml_I6__halfN3c1015Float8_e4m3fnuzELi64ELi2ELi16ELi16ELi2ELi1EEviiiPKT0_S5_PT_PKfS9_ii,@object ; @__PRETTY_FUNCTION__._Z17wvSplitKQ_hf_sml_I6__halfN3c1015Float8_e4m3fnuzELi64ELi2ELi16ELi16ELi2ELi1EEviiiPKT0_S5_PT_PKfS9_ii
__PRETTY_FUNCTION__._Z17wvSplitKQ_hf_sml_I6__halfN3c1015Float8_e4m3fnuzELi64ELi2ELi16ELi16ELi2ELi1EEviiiPKT0_S5_PT_PKfS9_ii:
	.asciz	"void wvSplitKQ_hf_sml_(const int, const int, const int, const fp8_t *, const fp8_t *__restrict, scalar_t *, const float *__restrict, const float *__restrict, const int, const int) [scalar_t = __half, fp8_t = c10::Float8_e4m3fnuz, THRDS = 64, YTILE = 2, WvPrGrp = 16, A_CHUNK = 16, UNRL = 2, N = 1]"
	.size	__PRETTY_FUNCTION__._Z17wvSplitKQ_hf_sml_I6__halfN3c1015Float8_e4m3fnuzELi64ELi2ELi16ELi16ELi2ELi1EEviiiPKT0_S5_PT_PKfS9_ii, 298

	.type	__PRETTY_FUNCTION__._Z13wvSplitKQ_hf_I6__halfN3c1015Float8_e4m3fnuzELi64ELi2ELi16ELi16ELi2ELi1EEviiiPKT0_S5_PT_PKfS9_ii,@object ; @__PRETTY_FUNCTION__._Z13wvSplitKQ_hf_I6__halfN3c1015Float8_e4m3fnuzELi64ELi2ELi16ELi16ELi2ELi1EEviiiPKT0_S5_PT_PKfS9_ii
__PRETTY_FUNCTION__._Z13wvSplitKQ_hf_I6__halfN3c1015Float8_e4m3fnuzELi64ELi2ELi16ELi16ELi2ELi1EEviiiPKT0_S5_PT_PKfS9_ii:
	.asciz	"void wvSplitKQ_hf_(const int, const int, const int, const fp8_t *, const fp8_t *__restrict, scalar_t *, const float *__restrict, const float *__restrict, const int, const int) [scalar_t = __half, fp8_t = c10::Float8_e4m3fnuz, THRDS = 64, YTILE = 2, WvPrGrp = 16, A_CHUNK = 16, UNRL = 2, N = 1]"
	.size	__PRETTY_FUNCTION__._Z13wvSplitKQ_hf_I6__halfN3c1015Float8_e4m3fnuzELi64ELi2ELi16ELi16ELi2ELi1EEviiiPKT0_S5_PT_PKfS9_ii, 294

	.type	__PRETTY_FUNCTION__._Z17wvSplitKQ_hf_sml_I6__halfN3c1015Float8_e4m3fnuzELi64ELi2ELi16ELi16ELi2ELi2EEviiiPKT0_S5_PT_PKfS9_ii,@object ; @__PRETTY_FUNCTION__._Z17wvSplitKQ_hf_sml_I6__halfN3c1015Float8_e4m3fnuzELi64ELi2ELi16ELi16ELi2ELi2EEviiiPKT0_S5_PT_PKfS9_ii
__PRETTY_FUNCTION__._Z17wvSplitKQ_hf_sml_I6__halfN3c1015Float8_e4m3fnuzELi64ELi2ELi16ELi16ELi2ELi2EEviiiPKT0_S5_PT_PKfS9_ii:
	.asciz	"void wvSplitKQ_hf_sml_(const int, const int, const int, const fp8_t *, const fp8_t *__restrict, scalar_t *, const float *__restrict, const float *__restrict, const int, const int) [scalar_t = __half, fp8_t = c10::Float8_e4m3fnuz, THRDS = 64, YTILE = 2, WvPrGrp = 16, A_CHUNK = 16, UNRL = 2, N = 2]"
	.size	__PRETTY_FUNCTION__._Z17wvSplitKQ_hf_sml_I6__halfN3c1015Float8_e4m3fnuzELi64ELi2ELi16ELi16ELi2ELi2EEviiiPKT0_S5_PT_PKfS9_ii, 298

	.type	__PRETTY_FUNCTION__._Z13wvSplitKQ_hf_I6__halfN3c1015Float8_e4m3fnuzELi64ELi2ELi16ELi16ELi2ELi2EEviiiPKT0_S5_PT_PKfS9_ii,@object ; @__PRETTY_FUNCTION__._Z13wvSplitKQ_hf_I6__halfN3c1015Float8_e4m3fnuzELi64ELi2ELi16ELi16ELi2ELi2EEviiiPKT0_S5_PT_PKfS9_ii
__PRETTY_FUNCTION__._Z13wvSplitKQ_hf_I6__halfN3c1015Float8_e4m3fnuzELi64ELi2ELi16ELi16ELi2ELi2EEviiiPKT0_S5_PT_PKfS9_ii:
	.asciz	"void wvSplitKQ_hf_(const int, const int, const int, const fp8_t *, const fp8_t *__restrict, scalar_t *, const float *__restrict, const float *__restrict, const int, const int) [scalar_t = __half, fp8_t = c10::Float8_e4m3fnuz, THRDS = 64, YTILE = 2, WvPrGrp = 16, A_CHUNK = 16, UNRL = 2, N = 2]"
	.size	__PRETTY_FUNCTION__._Z13wvSplitKQ_hf_I6__halfN3c1015Float8_e4m3fnuzELi64ELi2ELi16ELi16ELi2ELi2EEviiiPKT0_S5_PT_PKfS9_ii, 294

	.type	__PRETTY_FUNCTION__._Z17wvSplitKQ_hf_sml_I6__halfN3c1015Float8_e4m3fnuzELi64ELi4ELi16ELi16ELi1ELi3EEviiiPKT0_S5_PT_PKfS9_ii,@object ; @__PRETTY_FUNCTION__._Z17wvSplitKQ_hf_sml_I6__halfN3c1015Float8_e4m3fnuzELi64ELi4ELi16ELi16ELi1ELi3EEviiiPKT0_S5_PT_PKfS9_ii
__PRETTY_FUNCTION__._Z17wvSplitKQ_hf_sml_I6__halfN3c1015Float8_e4m3fnuzELi64ELi4ELi16ELi16ELi1ELi3EEviiiPKT0_S5_PT_PKfS9_ii:
	.asciz	"void wvSplitKQ_hf_sml_(const int, const int, const int, const fp8_t *, const fp8_t *__restrict, scalar_t *, const float *__restrict, const float *__restrict, const int, const int) [scalar_t = __half, fp8_t = c10::Float8_e4m3fnuz, THRDS = 64, YTILE = 4, WvPrGrp = 16, A_CHUNK = 16, UNRL = 1, N = 3]"
	.size	__PRETTY_FUNCTION__._Z17wvSplitKQ_hf_sml_I6__halfN3c1015Float8_e4m3fnuzELi64ELi4ELi16ELi16ELi1ELi3EEviiiPKT0_S5_PT_PKfS9_ii, 298

	.type	__PRETTY_FUNCTION__._Z13wvSplitKQ_hf_I6__halfN3c1015Float8_e4m3fnuzELi64ELi7ELi16ELi16ELi1ELi3EEviiiPKT0_S5_PT_PKfS9_ii,@object ; @__PRETTY_FUNCTION__._Z13wvSplitKQ_hf_I6__halfN3c1015Float8_e4m3fnuzELi64ELi7ELi16ELi16ELi1ELi3EEviiiPKT0_S5_PT_PKfS9_ii
__PRETTY_FUNCTION__._Z13wvSplitKQ_hf_I6__halfN3c1015Float8_e4m3fnuzELi64ELi7ELi16ELi16ELi1ELi3EEviiiPKT0_S5_PT_PKfS9_ii:
	.asciz	"void wvSplitKQ_hf_(const int, const int, const int, const fp8_t *, const fp8_t *__restrict, scalar_t *, const float *__restrict, const float *__restrict, const int, const int) [scalar_t = __half, fp8_t = c10::Float8_e4m3fnuz, THRDS = 64, YTILE = 7, WvPrGrp = 16, A_CHUNK = 16, UNRL = 1, N = 3]"
	.size	__PRETTY_FUNCTION__._Z13wvSplitKQ_hf_I6__halfN3c1015Float8_e4m3fnuzELi64ELi7ELi16ELi16ELi1ELi3EEviiiPKT0_S5_PT_PKfS9_ii, 294

	.type	__PRETTY_FUNCTION__._Z17wvSplitKQ_hf_sml_I6__halfN3c1015Float8_e4m3fnuzELi64ELi4ELi16ELi16ELi1ELi4EEviiiPKT0_S5_PT_PKfS9_ii,@object ; @__PRETTY_FUNCTION__._Z17wvSplitKQ_hf_sml_I6__halfN3c1015Float8_e4m3fnuzELi64ELi4ELi16ELi16ELi1ELi4EEviiiPKT0_S5_PT_PKfS9_ii
__PRETTY_FUNCTION__._Z17wvSplitKQ_hf_sml_I6__halfN3c1015Float8_e4m3fnuzELi64ELi4ELi16ELi16ELi1ELi4EEviiiPKT0_S5_PT_PKfS9_ii:
	.asciz	"void wvSplitKQ_hf_sml_(const int, const int, const int, const fp8_t *, const fp8_t *__restrict, scalar_t *, const float *__restrict, const float *__restrict, const int, const int) [scalar_t = __half, fp8_t = c10::Float8_e4m3fnuz, THRDS = 64, YTILE = 4, WvPrGrp = 16, A_CHUNK = 16, UNRL = 1, N = 4]"
	.size	__PRETTY_FUNCTION__._Z17wvSplitKQ_hf_sml_I6__halfN3c1015Float8_e4m3fnuzELi64ELi4ELi16ELi16ELi1ELi4EEviiiPKT0_S5_PT_PKfS9_ii, 298

	.type	__PRETTY_FUNCTION__._Z13wvSplitKQ_hf_I6__halfN3c1015Float8_e4m3fnuzELi64ELi7ELi16ELi16ELi1ELi4EEviiiPKT0_S5_PT_PKfS9_ii,@object ; @__PRETTY_FUNCTION__._Z13wvSplitKQ_hf_I6__halfN3c1015Float8_e4m3fnuzELi64ELi7ELi16ELi16ELi1ELi4EEviiiPKT0_S5_PT_PKfS9_ii
__PRETTY_FUNCTION__._Z13wvSplitKQ_hf_I6__halfN3c1015Float8_e4m3fnuzELi64ELi7ELi16ELi16ELi1ELi4EEviiiPKT0_S5_PT_PKfS9_ii:
	.asciz	"void wvSplitKQ_hf_(const int, const int, const int, const fp8_t *, const fp8_t *__restrict, scalar_t *, const float *__restrict, const float *__restrict, const int, const int) [scalar_t = __half, fp8_t = c10::Float8_e4m3fnuz, THRDS = 64, YTILE = 7, WvPrGrp = 16, A_CHUNK = 16, UNRL = 1, N = 4]"
	.size	__PRETTY_FUNCTION__._Z13wvSplitKQ_hf_I6__halfN3c1015Float8_e4m3fnuzELi64ELi7ELi16ELi16ELi1ELi4EEviiiPKT0_S5_PT_PKfS9_ii, 294

	.type	__PRETTY_FUNCTION__._Z17wvSplitKQ_hf_sml_I14__hip_bfloat16N3c1013Float8_e4m3fnELi64ELi2ELi16ELi16ELi2ELi1EEviiiPKT0_S5_PT_PKfS9_ii,@object ; @__PRETTY_FUNCTION__._Z17wvSplitKQ_hf_sml_I14__hip_bfloat16N3c1013Float8_e4m3fnELi64ELi2ELi16ELi16ELi2ELi1EEviiiPKT0_S5_PT_PKfS9_ii
__PRETTY_FUNCTION__._Z17wvSplitKQ_hf_sml_I14__hip_bfloat16N3c1013Float8_e4m3fnELi64ELi2ELi16ELi16ELi2ELi1EEviiiPKT0_S5_PT_PKfS9_ii:
	.asciz	"void wvSplitKQ_hf_sml_(const int, const int, const int, const fp8_t *, const fp8_t *__restrict, scalar_t *, const float *__restrict, const float *__restrict, const int, const int) [scalar_t = __hip_bfloat16, fp8_t = c10::Float8_e4m3fn, THRDS = 64, YTILE = 2, WvPrGrp = 16, A_CHUNK = 16, UNRL = 2, N = 1]"
	.size	__PRETTY_FUNCTION__._Z17wvSplitKQ_hf_sml_I14__hip_bfloat16N3c1013Float8_e4m3fnELi64ELi2ELi16ELi16ELi2ELi1EEviiiPKT0_S5_PT_PKfS9_ii, 304

	.type	__PRETTY_FUNCTION__._Z13wvSplitKQ_hf_I14__hip_bfloat16N3c1013Float8_e4m3fnELi64ELi2ELi16ELi16ELi2ELi1EEviiiPKT0_S5_PT_PKfS9_ii,@object ; @__PRETTY_FUNCTION__._Z13wvSplitKQ_hf_I14__hip_bfloat16N3c1013Float8_e4m3fnELi64ELi2ELi16ELi16ELi2ELi1EEviiiPKT0_S5_PT_PKfS9_ii
__PRETTY_FUNCTION__._Z13wvSplitKQ_hf_I14__hip_bfloat16N3c1013Float8_e4m3fnELi64ELi2ELi16ELi16ELi2ELi1EEviiiPKT0_S5_PT_PKfS9_ii:
	.asciz	"void wvSplitKQ_hf_(const int, const int, const int, const fp8_t *, const fp8_t *__restrict, scalar_t *, const float *__restrict, const float *__restrict, const int, const int) [scalar_t = __hip_bfloat16, fp8_t = c10::Float8_e4m3fn, THRDS = 64, YTILE = 2, WvPrGrp = 16, A_CHUNK = 16, UNRL = 2, N = 1]"
	.size	__PRETTY_FUNCTION__._Z13wvSplitKQ_hf_I14__hip_bfloat16N3c1013Float8_e4m3fnELi64ELi2ELi16ELi16ELi2ELi1EEviiiPKT0_S5_PT_PKfS9_ii, 300

	.type	__PRETTY_FUNCTION__._Z17wvSplitKQ_hf_sml_I14__hip_bfloat16N3c1013Float8_e4m3fnELi64ELi2ELi16ELi16ELi2ELi2EEviiiPKT0_S5_PT_PKfS9_ii,@object ; @__PRETTY_FUNCTION__._Z17wvSplitKQ_hf_sml_I14__hip_bfloat16N3c1013Float8_e4m3fnELi64ELi2ELi16ELi16ELi2ELi2EEviiiPKT0_S5_PT_PKfS9_ii
__PRETTY_FUNCTION__._Z17wvSplitKQ_hf_sml_I14__hip_bfloat16N3c1013Float8_e4m3fnELi64ELi2ELi16ELi16ELi2ELi2EEviiiPKT0_S5_PT_PKfS9_ii:
	.asciz	"void wvSplitKQ_hf_sml_(const int, const int, const int, const fp8_t *, const fp8_t *__restrict, scalar_t *, const float *__restrict, const float *__restrict, const int, const int) [scalar_t = __hip_bfloat16, fp8_t = c10::Float8_e4m3fn, THRDS = 64, YTILE = 2, WvPrGrp = 16, A_CHUNK = 16, UNRL = 2, N = 2]"
	.size	__PRETTY_FUNCTION__._Z17wvSplitKQ_hf_sml_I14__hip_bfloat16N3c1013Float8_e4m3fnELi64ELi2ELi16ELi16ELi2ELi2EEviiiPKT0_S5_PT_PKfS9_ii, 304

	.type	__PRETTY_FUNCTION__._Z13wvSplitKQ_hf_I14__hip_bfloat16N3c1013Float8_e4m3fnELi64ELi2ELi16ELi16ELi2ELi2EEviiiPKT0_S5_PT_PKfS9_ii,@object ; @__PRETTY_FUNCTION__._Z13wvSplitKQ_hf_I14__hip_bfloat16N3c1013Float8_e4m3fnELi64ELi2ELi16ELi16ELi2ELi2EEviiiPKT0_S5_PT_PKfS9_ii
__PRETTY_FUNCTION__._Z13wvSplitKQ_hf_I14__hip_bfloat16N3c1013Float8_e4m3fnELi64ELi2ELi16ELi16ELi2ELi2EEviiiPKT0_S5_PT_PKfS9_ii:
	.asciz	"void wvSplitKQ_hf_(const int, const int, const int, const fp8_t *, const fp8_t *__restrict, scalar_t *, const float *__restrict, const float *__restrict, const int, const int) [scalar_t = __hip_bfloat16, fp8_t = c10::Float8_e4m3fn, THRDS = 64, YTILE = 2, WvPrGrp = 16, A_CHUNK = 16, UNRL = 2, N = 2]"
	.size	__PRETTY_FUNCTION__._Z13wvSplitKQ_hf_I14__hip_bfloat16N3c1013Float8_e4m3fnELi64ELi2ELi16ELi16ELi2ELi2EEviiiPKT0_S5_PT_PKfS9_ii, 300

	.type	__PRETTY_FUNCTION__._Z17wvSplitKQ_hf_sml_I14__hip_bfloat16N3c1013Float8_e4m3fnELi64ELi4ELi16ELi16ELi1ELi3EEviiiPKT0_S5_PT_PKfS9_ii,@object ; @__PRETTY_FUNCTION__._Z17wvSplitKQ_hf_sml_I14__hip_bfloat16N3c1013Float8_e4m3fnELi64ELi4ELi16ELi16ELi1ELi3EEviiiPKT0_S5_PT_PKfS9_ii
__PRETTY_FUNCTION__._Z17wvSplitKQ_hf_sml_I14__hip_bfloat16N3c1013Float8_e4m3fnELi64ELi4ELi16ELi16ELi1ELi3EEviiiPKT0_S5_PT_PKfS9_ii:
	.asciz	"void wvSplitKQ_hf_sml_(const int, const int, const int, const fp8_t *, const fp8_t *__restrict, scalar_t *, const float *__restrict, const float *__restrict, const int, const int) [scalar_t = __hip_bfloat16, fp8_t = c10::Float8_e4m3fn, THRDS = 64, YTILE = 4, WvPrGrp = 16, A_CHUNK = 16, UNRL = 1, N = 3]"
	.size	__PRETTY_FUNCTION__._Z17wvSplitKQ_hf_sml_I14__hip_bfloat16N3c1013Float8_e4m3fnELi64ELi4ELi16ELi16ELi1ELi3EEviiiPKT0_S5_PT_PKfS9_ii, 304

	.type	__PRETTY_FUNCTION__._Z13wvSplitKQ_hf_I14__hip_bfloat16N3c1013Float8_e4m3fnELi64ELi7ELi16ELi16ELi1ELi3EEviiiPKT0_S5_PT_PKfS9_ii,@object ; @__PRETTY_FUNCTION__._Z13wvSplitKQ_hf_I14__hip_bfloat16N3c1013Float8_e4m3fnELi64ELi7ELi16ELi16ELi1ELi3EEviiiPKT0_S5_PT_PKfS9_ii
__PRETTY_FUNCTION__._Z13wvSplitKQ_hf_I14__hip_bfloat16N3c1013Float8_e4m3fnELi64ELi7ELi16ELi16ELi1ELi3EEviiiPKT0_S5_PT_PKfS9_ii:
	.asciz	"void wvSplitKQ_hf_(const int, const int, const int, const fp8_t *, const fp8_t *__restrict, scalar_t *, const float *__restrict, const float *__restrict, const int, const int) [scalar_t = __hip_bfloat16, fp8_t = c10::Float8_e4m3fn, THRDS = 64, YTILE = 7, WvPrGrp = 16, A_CHUNK = 16, UNRL = 1, N = 3]"
	.size	__PRETTY_FUNCTION__._Z13wvSplitKQ_hf_I14__hip_bfloat16N3c1013Float8_e4m3fnELi64ELi7ELi16ELi16ELi1ELi3EEviiiPKT0_S5_PT_PKfS9_ii, 300

	.type	__PRETTY_FUNCTION__._Z17wvSplitKQ_hf_sml_I14__hip_bfloat16N3c1013Float8_e4m3fnELi64ELi4ELi16ELi16ELi1ELi4EEviiiPKT0_S5_PT_PKfS9_ii,@object ; @__PRETTY_FUNCTION__._Z17wvSplitKQ_hf_sml_I14__hip_bfloat16N3c1013Float8_e4m3fnELi64ELi4ELi16ELi16ELi1ELi4EEviiiPKT0_S5_PT_PKfS9_ii
__PRETTY_FUNCTION__._Z17wvSplitKQ_hf_sml_I14__hip_bfloat16N3c1013Float8_e4m3fnELi64ELi4ELi16ELi16ELi1ELi4EEviiiPKT0_S5_PT_PKfS9_ii:
	.asciz	"void wvSplitKQ_hf_sml_(const int, const int, const int, const fp8_t *, const fp8_t *__restrict, scalar_t *, const float *__restrict, const float *__restrict, const int, const int) [scalar_t = __hip_bfloat16, fp8_t = c10::Float8_e4m3fn, THRDS = 64, YTILE = 4, WvPrGrp = 16, A_CHUNK = 16, UNRL = 1, N = 4]"
	.size	__PRETTY_FUNCTION__._Z17wvSplitKQ_hf_sml_I14__hip_bfloat16N3c1013Float8_e4m3fnELi64ELi4ELi16ELi16ELi1ELi4EEviiiPKT0_S5_PT_PKfS9_ii, 304

	.type	__PRETTY_FUNCTION__._Z13wvSplitKQ_hf_I14__hip_bfloat16N3c1013Float8_e4m3fnELi64ELi7ELi16ELi16ELi1ELi4EEviiiPKT0_S5_PT_PKfS9_ii,@object ; @__PRETTY_FUNCTION__._Z13wvSplitKQ_hf_I14__hip_bfloat16N3c1013Float8_e4m3fnELi64ELi7ELi16ELi16ELi1ELi4EEviiiPKT0_S5_PT_PKfS9_ii
__PRETTY_FUNCTION__._Z13wvSplitKQ_hf_I14__hip_bfloat16N3c1013Float8_e4m3fnELi64ELi7ELi16ELi16ELi1ELi4EEviiiPKT0_S5_PT_PKfS9_ii:
	.asciz	"void wvSplitKQ_hf_(const int, const int, const int, const fp8_t *, const fp8_t *__restrict, scalar_t *, const float *__restrict, const float *__restrict, const int, const int) [scalar_t = __hip_bfloat16, fp8_t = c10::Float8_e4m3fn, THRDS = 64, YTILE = 7, WvPrGrp = 16, A_CHUNK = 16, UNRL = 1, N = 4]"
	.size	__PRETTY_FUNCTION__._Z13wvSplitKQ_hf_I14__hip_bfloat16N3c1013Float8_e4m3fnELi64ELi7ELi16ELi16ELi1ELi4EEviiiPKT0_S5_PT_PKfS9_ii, 300

	.type	__PRETTY_FUNCTION__._Z17wvSplitKQ_hf_sml_I14__hip_bfloat16N3c1015Float8_e4m3fnuzELi64ELi2ELi16ELi16ELi2ELi1EEviiiPKT0_S5_PT_PKfS9_ii,@object ; @__PRETTY_FUNCTION__._Z17wvSplitKQ_hf_sml_I14__hip_bfloat16N3c1015Float8_e4m3fnuzELi64ELi2ELi16ELi16ELi2ELi1EEviiiPKT0_S5_PT_PKfS9_ii
__PRETTY_FUNCTION__._Z17wvSplitKQ_hf_sml_I14__hip_bfloat16N3c1015Float8_e4m3fnuzELi64ELi2ELi16ELi16ELi2ELi1EEviiiPKT0_S5_PT_PKfS9_ii:
	.asciz	"void wvSplitKQ_hf_sml_(const int, const int, const int, const fp8_t *, const fp8_t *__restrict, scalar_t *, const float *__restrict, const float *__restrict, const int, const int) [scalar_t = __hip_bfloat16, fp8_t = c10::Float8_e4m3fnuz, THRDS = 64, YTILE = 2, WvPrGrp = 16, A_CHUNK = 16, UNRL = 2, N = 1]"
	.size	__PRETTY_FUNCTION__._Z17wvSplitKQ_hf_sml_I14__hip_bfloat16N3c1015Float8_e4m3fnuzELi64ELi2ELi16ELi16ELi2ELi1EEviiiPKT0_S5_PT_PKfS9_ii, 306

	.type	__PRETTY_FUNCTION__._Z13wvSplitKQ_hf_I14__hip_bfloat16N3c1015Float8_e4m3fnuzELi64ELi2ELi16ELi16ELi2ELi1EEviiiPKT0_S5_PT_PKfS9_ii,@object ; @__PRETTY_FUNCTION__._Z13wvSplitKQ_hf_I14__hip_bfloat16N3c1015Float8_e4m3fnuzELi64ELi2ELi16ELi16ELi2ELi1EEviiiPKT0_S5_PT_PKfS9_ii
__PRETTY_FUNCTION__._Z13wvSplitKQ_hf_I14__hip_bfloat16N3c1015Float8_e4m3fnuzELi64ELi2ELi16ELi16ELi2ELi1EEviiiPKT0_S5_PT_PKfS9_ii:
	.asciz	"void wvSplitKQ_hf_(const int, const int, const int, const fp8_t *, const fp8_t *__restrict, scalar_t *, const float *__restrict, const float *__restrict, const int, const int) [scalar_t = __hip_bfloat16, fp8_t = c10::Float8_e4m3fnuz, THRDS = 64, YTILE = 2, WvPrGrp = 16, A_CHUNK = 16, UNRL = 2, N = 1]"
	.size	__PRETTY_FUNCTION__._Z13wvSplitKQ_hf_I14__hip_bfloat16N3c1015Float8_e4m3fnuzELi64ELi2ELi16ELi16ELi2ELi1EEviiiPKT0_S5_PT_PKfS9_ii, 302

	.type	__PRETTY_FUNCTION__._Z17wvSplitKQ_hf_sml_I14__hip_bfloat16N3c1015Float8_e4m3fnuzELi64ELi2ELi16ELi16ELi2ELi2EEviiiPKT0_S5_PT_PKfS9_ii,@object ; @__PRETTY_FUNCTION__._Z17wvSplitKQ_hf_sml_I14__hip_bfloat16N3c1015Float8_e4m3fnuzELi64ELi2ELi16ELi16ELi2ELi2EEviiiPKT0_S5_PT_PKfS9_ii
__PRETTY_FUNCTION__._Z17wvSplitKQ_hf_sml_I14__hip_bfloat16N3c1015Float8_e4m3fnuzELi64ELi2ELi16ELi16ELi2ELi2EEviiiPKT0_S5_PT_PKfS9_ii:
	.asciz	"void wvSplitKQ_hf_sml_(const int, const int, const int, const fp8_t *, const fp8_t *__restrict, scalar_t *, const float *__restrict, const float *__restrict, const int, const int) [scalar_t = __hip_bfloat16, fp8_t = c10::Float8_e4m3fnuz, THRDS = 64, YTILE = 2, WvPrGrp = 16, A_CHUNK = 16, UNRL = 2, N = 2]"
	.size	__PRETTY_FUNCTION__._Z17wvSplitKQ_hf_sml_I14__hip_bfloat16N3c1015Float8_e4m3fnuzELi64ELi2ELi16ELi16ELi2ELi2EEviiiPKT0_S5_PT_PKfS9_ii, 306

	.type	__PRETTY_FUNCTION__._Z13wvSplitKQ_hf_I14__hip_bfloat16N3c1015Float8_e4m3fnuzELi64ELi2ELi16ELi16ELi2ELi2EEviiiPKT0_S5_PT_PKfS9_ii,@object ; @__PRETTY_FUNCTION__._Z13wvSplitKQ_hf_I14__hip_bfloat16N3c1015Float8_e4m3fnuzELi64ELi2ELi16ELi16ELi2ELi2EEviiiPKT0_S5_PT_PKfS9_ii
__PRETTY_FUNCTION__._Z13wvSplitKQ_hf_I14__hip_bfloat16N3c1015Float8_e4m3fnuzELi64ELi2ELi16ELi16ELi2ELi2EEviiiPKT0_S5_PT_PKfS9_ii:
	.asciz	"void wvSplitKQ_hf_(const int, const int, const int, const fp8_t *, const fp8_t *__restrict, scalar_t *, const float *__restrict, const float *__restrict, const int, const int) [scalar_t = __hip_bfloat16, fp8_t = c10::Float8_e4m3fnuz, THRDS = 64, YTILE = 2, WvPrGrp = 16, A_CHUNK = 16, UNRL = 2, N = 2]"
	.size	__PRETTY_FUNCTION__._Z13wvSplitKQ_hf_I14__hip_bfloat16N3c1015Float8_e4m3fnuzELi64ELi2ELi16ELi16ELi2ELi2EEviiiPKT0_S5_PT_PKfS9_ii, 302

	.type	__PRETTY_FUNCTION__._Z17wvSplitKQ_hf_sml_I14__hip_bfloat16N3c1015Float8_e4m3fnuzELi64ELi4ELi16ELi16ELi1ELi3EEviiiPKT0_S5_PT_PKfS9_ii,@object ; @__PRETTY_FUNCTION__._Z17wvSplitKQ_hf_sml_I14__hip_bfloat16N3c1015Float8_e4m3fnuzELi64ELi4ELi16ELi16ELi1ELi3EEviiiPKT0_S5_PT_PKfS9_ii
__PRETTY_FUNCTION__._Z17wvSplitKQ_hf_sml_I14__hip_bfloat16N3c1015Float8_e4m3fnuzELi64ELi4ELi16ELi16ELi1ELi3EEviiiPKT0_S5_PT_PKfS9_ii:
	.asciz	"void wvSplitKQ_hf_sml_(const int, const int, const int, const fp8_t *, const fp8_t *__restrict, scalar_t *, const float *__restrict, const float *__restrict, const int, const int) [scalar_t = __hip_bfloat16, fp8_t = c10::Float8_e4m3fnuz, THRDS = 64, YTILE = 4, WvPrGrp = 16, A_CHUNK = 16, UNRL = 1, N = 3]"
	.size	__PRETTY_FUNCTION__._Z17wvSplitKQ_hf_sml_I14__hip_bfloat16N3c1015Float8_e4m3fnuzELi64ELi4ELi16ELi16ELi1ELi3EEviiiPKT0_S5_PT_PKfS9_ii, 306

	.type	__PRETTY_FUNCTION__._Z13wvSplitKQ_hf_I14__hip_bfloat16N3c1015Float8_e4m3fnuzELi64ELi7ELi16ELi16ELi1ELi3EEviiiPKT0_S5_PT_PKfS9_ii,@object ; @__PRETTY_FUNCTION__._Z13wvSplitKQ_hf_I14__hip_bfloat16N3c1015Float8_e4m3fnuzELi64ELi7ELi16ELi16ELi1ELi3EEviiiPKT0_S5_PT_PKfS9_ii
__PRETTY_FUNCTION__._Z13wvSplitKQ_hf_I14__hip_bfloat16N3c1015Float8_e4m3fnuzELi64ELi7ELi16ELi16ELi1ELi3EEviiiPKT0_S5_PT_PKfS9_ii:
	.asciz	"void wvSplitKQ_hf_(const int, const int, const int, const fp8_t *, const fp8_t *__restrict, scalar_t *, const float *__restrict, const float *__restrict, const int, const int) [scalar_t = __hip_bfloat16, fp8_t = c10::Float8_e4m3fnuz, THRDS = 64, YTILE = 7, WvPrGrp = 16, A_CHUNK = 16, UNRL = 1, N = 3]"
	.size	__PRETTY_FUNCTION__._Z13wvSplitKQ_hf_I14__hip_bfloat16N3c1015Float8_e4m3fnuzELi64ELi7ELi16ELi16ELi1ELi3EEviiiPKT0_S5_PT_PKfS9_ii, 302

	.type	__PRETTY_FUNCTION__._Z17wvSplitKQ_hf_sml_I14__hip_bfloat16N3c1015Float8_e4m3fnuzELi64ELi4ELi16ELi16ELi1ELi4EEviiiPKT0_S5_PT_PKfS9_ii,@object ; @__PRETTY_FUNCTION__._Z17wvSplitKQ_hf_sml_I14__hip_bfloat16N3c1015Float8_e4m3fnuzELi64ELi4ELi16ELi16ELi1ELi4EEviiiPKT0_S5_PT_PKfS9_ii
__PRETTY_FUNCTION__._Z17wvSplitKQ_hf_sml_I14__hip_bfloat16N3c1015Float8_e4m3fnuzELi64ELi4ELi16ELi16ELi1ELi4EEviiiPKT0_S5_PT_PKfS9_ii:
	.asciz	"void wvSplitKQ_hf_sml_(const int, const int, const int, const fp8_t *, const fp8_t *__restrict, scalar_t *, const float *__restrict, const float *__restrict, const int, const int) [scalar_t = __hip_bfloat16, fp8_t = c10::Float8_e4m3fnuz, THRDS = 64, YTILE = 4, WvPrGrp = 16, A_CHUNK = 16, UNRL = 1, N = 4]"
	.size	__PRETTY_FUNCTION__._Z17wvSplitKQ_hf_sml_I14__hip_bfloat16N3c1015Float8_e4m3fnuzELi64ELi4ELi16ELi16ELi1ELi4EEviiiPKT0_S5_PT_PKfS9_ii, 306

	.type	__PRETTY_FUNCTION__._Z13wvSplitKQ_hf_I14__hip_bfloat16N3c1015Float8_e4m3fnuzELi64ELi7ELi16ELi16ELi1ELi4EEviiiPKT0_S5_PT_PKfS9_ii,@object ; @__PRETTY_FUNCTION__._Z13wvSplitKQ_hf_I14__hip_bfloat16N3c1015Float8_e4m3fnuzELi64ELi7ELi16ELi16ELi1ELi4EEviiiPKT0_S5_PT_PKfS9_ii
__PRETTY_FUNCTION__._Z13wvSplitKQ_hf_I14__hip_bfloat16N3c1015Float8_e4m3fnuzELi64ELi7ELi16ELi16ELi1ELi4EEviiiPKT0_S5_PT_PKfS9_ii:
	.asciz	"void wvSplitKQ_hf_(const int, const int, const int, const fp8_t *, const fp8_t *__restrict, scalar_t *, const float *__restrict, const float *__restrict, const int, const int) [scalar_t = __hip_bfloat16, fp8_t = c10::Float8_e4m3fnuz, THRDS = 64, YTILE = 7, WvPrGrp = 16, A_CHUNK = 16, UNRL = 1, N = 4]"
	.size	__PRETTY_FUNCTION__._Z13wvSplitKQ_hf_I14__hip_bfloat16N3c1015Float8_e4m3fnuzELi64ELi7ELi16ELi16ELi1ELi4EEviiiPKT0_S5_PT_PKfS9_ii, 302

	.type	__hip_cuid_35586c5f48f5ed42,@object ; @__hip_cuid_35586c5f48f5ed42
	.section	.bss,"aw",@nobits
	.globl	__hip_cuid_35586c5f48f5ed42
__hip_cuid_35586c5f48f5ed42:
	.byte	0                               ; 0x0
	.size	__hip_cuid_35586c5f48f5ed42, 1

	.ident	"AMD clang version 22.0.0git (https://github.com/RadeonOpenCompute/llvm-project roc-7.2.4 26084 f58b06dce1f9c15707c5f808fd002e18c2accf7e)"
	.section	".note.GNU-stack","",@progbits
	.addrsig
	.addrsig_sym __hip_cuid_35586c5f48f5ed42
	.amdgpu_metadata
---
amdhsa.kernels:
  - .args:
      - .address_space:  global
        .offset:         0
        .size:           8
        .value_kind:     global_buffer
      - .address_space:  global
        .offset:         8
        .size:           8
        .value_kind:     global_buffer
      - .address_space:  global
        .offset:         16
        .size:           8
        .value_kind:     global_buffer
      - .offset:         24
        .size:           4
        .value_kind:     by_value
      - .offset:         32
        .size:           4
        .value_kind:     hidden_block_count_x
      - .offset:         36
        .size:           4
        .value_kind:     hidden_block_count_y
      - .offset:         40
        .size:           4
        .value_kind:     hidden_block_count_z
      - .offset:         44
        .size:           2
        .value_kind:     hidden_group_size_x
      - .offset:         46
        .size:           2
        .value_kind:     hidden_group_size_y
      - .offset:         48
        .size:           2
        .value_kind:     hidden_group_size_z
      - .offset:         50
        .size:           2
        .value_kind:     hidden_remainder_x
      - .offset:         52
        .size:           2
        .value_kind:     hidden_remainder_y
      - .offset:         54
        .size:           2
        .value_kind:     hidden_remainder_z
      - .offset:         72
        .size:           8
        .value_kind:     hidden_global_offset_x
      - .offset:         80
        .size:           8
        .value_kind:     hidden_global_offset_y
      - .offset:         88
        .size:           8
        .value_kind:     hidden_global_offset_z
      - .offset:         96
        .size:           2
        .value_kind:     hidden_grid_dims
    .group_segment_fixed_size: 256
    .kernarg_segment_align: 8
    .kernarg_segment_size: 288
    .language:       OpenCL C
    .language_version:
      - 2
      - 0
    .max_flat_workgroup_size: 1024
    .name:           _Z14LLGemm1_kernelIN3c104HalfELi2EEvPKT_S4_PS2_i
    .private_segment_fixed_size: 0
    .sgpr_count:     14
    .sgpr_spill_count: 0
    .symbol:         _Z14LLGemm1_kernelIN3c104HalfELi2EEvPKT_S4_PS2_i.kd
    .uniform_work_group_size: 1
    .uses_dynamic_stack: false
    .vgpr_count:     14
    .vgpr_spill_count: 0
    .wavefront_size: 32
    .workgroup_processor_mode: 1
  - .args:
      - .address_space:  global
        .offset:         0
        .size:           8
        .value_kind:     global_buffer
      - .address_space:  global
        .offset:         8
        .size:           8
        .value_kind:     global_buffer
      - .address_space:  global
        .offset:         16
        .size:           8
        .value_kind:     global_buffer
      - .offset:         24
        .size:           4
        .value_kind:     by_value
      - .offset:         32
        .size:           4
        .value_kind:     hidden_block_count_x
      - .offset:         36
        .size:           4
        .value_kind:     hidden_block_count_y
      - .offset:         40
        .size:           4
        .value_kind:     hidden_block_count_z
      - .offset:         44
        .size:           2
        .value_kind:     hidden_group_size_x
      - .offset:         46
        .size:           2
        .value_kind:     hidden_group_size_y
      - .offset:         48
        .size:           2
        .value_kind:     hidden_group_size_z
      - .offset:         50
        .size:           2
        .value_kind:     hidden_remainder_x
      - .offset:         52
        .size:           2
        .value_kind:     hidden_remainder_y
      - .offset:         54
        .size:           2
        .value_kind:     hidden_remainder_z
      - .offset:         72
        .size:           8
        .value_kind:     hidden_global_offset_x
      - .offset:         80
        .size:           8
        .value_kind:     hidden_global_offset_y
      - .offset:         88
        .size:           8
        .value_kind:     hidden_global_offset_z
      - .offset:         96
        .size:           2
        .value_kind:     hidden_grid_dims
    .group_segment_fixed_size: 512
    .kernarg_segment_align: 8
    .kernarg_segment_size: 288
    .language:       OpenCL C
    .language_version:
      - 2
      - 0
    .max_flat_workgroup_size: 1024
    .name:           _Z14LLGemm1_kernelIN3c104HalfELi4EEvPKT_S4_PS2_i
    .private_segment_fixed_size: 0
    .sgpr_count:     18
    .sgpr_spill_count: 0
    .symbol:         _Z14LLGemm1_kernelIN3c104HalfELi4EEvPKT_S4_PS2_i.kd
    .uniform_work_group_size: 1
    .uses_dynamic_stack: false
    .vgpr_count:     22
    .vgpr_spill_count: 0
    .wavefront_size: 32
    .workgroup_processor_mode: 1
  - .args:
      - .address_space:  global
        .offset:         0
        .size:           8
        .value_kind:     global_buffer
      - .address_space:  global
        .offset:         8
        .size:           8
        .value_kind:     global_buffer
      - .address_space:  global
        .offset:         16
        .size:           8
        .value_kind:     global_buffer
      - .offset:         24
        .size:           4
        .value_kind:     by_value
      - .offset:         32
        .size:           4
        .value_kind:     hidden_block_count_x
      - .offset:         36
        .size:           4
        .value_kind:     hidden_block_count_y
      - .offset:         40
        .size:           4
        .value_kind:     hidden_block_count_z
      - .offset:         44
        .size:           2
        .value_kind:     hidden_group_size_x
      - .offset:         46
        .size:           2
        .value_kind:     hidden_group_size_y
      - .offset:         48
        .size:           2
        .value_kind:     hidden_group_size_z
      - .offset:         50
        .size:           2
        .value_kind:     hidden_remainder_x
      - .offset:         52
        .size:           2
        .value_kind:     hidden_remainder_y
      - .offset:         54
        .size:           2
        .value_kind:     hidden_remainder_z
      - .offset:         72
        .size:           8
        .value_kind:     hidden_global_offset_x
      - .offset:         80
        .size:           8
        .value_kind:     hidden_global_offset_y
      - .offset:         88
        .size:           8
        .value_kind:     hidden_global_offset_z
      - .offset:         96
        .size:           2
        .value_kind:     hidden_grid_dims
    .group_segment_fixed_size: 1024
    .kernarg_segment_align: 8
    .kernarg_segment_size: 288
    .language:       OpenCL C
    .language_version:
      - 2
      - 0
    .max_flat_workgroup_size: 1024
    .name:           _Z14LLGemm1_kernelIN3c104HalfELi8EEvPKT_S4_PS2_i
    .private_segment_fixed_size: 0
    .sgpr_count:     18
    .sgpr_spill_count: 0
    .symbol:         _Z14LLGemm1_kernelIN3c104HalfELi8EEvPKT_S4_PS2_i.kd
    .uniform_work_group_size: 1
    .uses_dynamic_stack: false
    .vgpr_count:     38
    .vgpr_spill_count: 0
    .wavefront_size: 32
    .workgroup_processor_mode: 1
  - .args:
      - .address_space:  global
        .offset:         0
        .size:           8
        .value_kind:     global_buffer
      - .address_space:  global
        .offset:         8
        .size:           8
        .value_kind:     global_buffer
      - .address_space:  global
        .offset:         16
        .size:           8
        .value_kind:     global_buffer
      - .offset:         24
        .size:           4
        .value_kind:     by_value
      - .offset:         32
        .size:           4
        .value_kind:     hidden_block_count_x
      - .offset:         36
        .size:           4
        .value_kind:     hidden_block_count_y
      - .offset:         40
        .size:           4
        .value_kind:     hidden_block_count_z
      - .offset:         44
        .size:           2
        .value_kind:     hidden_group_size_x
      - .offset:         46
        .size:           2
        .value_kind:     hidden_group_size_y
      - .offset:         48
        .size:           2
        .value_kind:     hidden_group_size_z
      - .offset:         50
        .size:           2
        .value_kind:     hidden_remainder_x
      - .offset:         52
        .size:           2
        .value_kind:     hidden_remainder_y
      - .offset:         54
        .size:           2
        .value_kind:     hidden_remainder_z
      - .offset:         72
        .size:           8
        .value_kind:     hidden_global_offset_x
      - .offset:         80
        .size:           8
        .value_kind:     hidden_global_offset_y
      - .offset:         88
        .size:           8
        .value_kind:     hidden_global_offset_z
      - .offset:         96
        .size:           2
        .value_kind:     hidden_grid_dims
    .group_segment_fixed_size: 2048
    .kernarg_segment_align: 8
    .kernarg_segment_size: 288
    .language:       OpenCL C
    .language_version:
      - 2
      - 0
    .max_flat_workgroup_size: 1024
    .name:           _Z14LLGemm1_kernelIN3c104HalfELi16EEvPKT_S4_PS2_i
    .private_segment_fixed_size: 0
    .sgpr_count:     18
    .sgpr_spill_count: 0
    .symbol:         _Z14LLGemm1_kernelIN3c104HalfELi16EEvPKT_S4_PS2_i.kd
    .uniform_work_group_size: 1
    .uses_dynamic_stack: false
    .vgpr_count:     71
    .vgpr_spill_count: 0
    .wavefront_size: 32
    .workgroup_processor_mode: 1
  - .args:
      - .address_space:  global
        .offset:         0
        .size:           8
        .value_kind:     global_buffer
      - .address_space:  global
        .offset:         8
        .size:           8
        .value_kind:     global_buffer
      - .address_space:  global
        .offset:         16
        .size:           8
        .value_kind:     global_buffer
      - .offset:         24
        .size:           4
        .value_kind:     by_value
      - .offset:         32
        .size:           4
        .value_kind:     hidden_block_count_x
      - .offset:         36
        .size:           4
        .value_kind:     hidden_block_count_y
      - .offset:         40
        .size:           4
        .value_kind:     hidden_block_count_z
      - .offset:         44
        .size:           2
        .value_kind:     hidden_group_size_x
      - .offset:         46
        .size:           2
        .value_kind:     hidden_group_size_y
      - .offset:         48
        .size:           2
        .value_kind:     hidden_group_size_z
      - .offset:         50
        .size:           2
        .value_kind:     hidden_remainder_x
      - .offset:         52
        .size:           2
        .value_kind:     hidden_remainder_y
      - .offset:         54
        .size:           2
        .value_kind:     hidden_remainder_z
      - .offset:         72
        .size:           8
        .value_kind:     hidden_global_offset_x
      - .offset:         80
        .size:           8
        .value_kind:     hidden_global_offset_y
      - .offset:         88
        .size:           8
        .value_kind:     hidden_global_offset_z
      - .offset:         96
        .size:           2
        .value_kind:     hidden_grid_dims
    .group_segment_fixed_size: 256
    .kernarg_segment_align: 8
    .kernarg_segment_size: 288
    .language:       OpenCL C
    .language_version:
      - 2
      - 0
    .max_flat_workgroup_size: 1024
    .name:           _Z14LLGemm1_kernelIN3c108BFloat16ELi2EEvPKT_S4_PS2_i
    .private_segment_fixed_size: 0
    .sgpr_count:     14
    .sgpr_spill_count: 0
    .symbol:         _Z14LLGemm1_kernelIN3c108BFloat16ELi2EEvPKT_S4_PS2_i.kd
    .uniform_work_group_size: 1
    .uses_dynamic_stack: false
    .vgpr_count:     29
    .vgpr_spill_count: 0
    .wavefront_size: 32
    .workgroup_processor_mode: 1
  - .args:
      - .address_space:  global
        .offset:         0
        .size:           8
        .value_kind:     global_buffer
      - .address_space:  global
        .offset:         8
        .size:           8
        .value_kind:     global_buffer
      - .address_space:  global
        .offset:         16
        .size:           8
        .value_kind:     global_buffer
      - .offset:         24
        .size:           4
        .value_kind:     by_value
      - .offset:         32
        .size:           4
        .value_kind:     hidden_block_count_x
      - .offset:         36
        .size:           4
        .value_kind:     hidden_block_count_y
      - .offset:         40
        .size:           4
        .value_kind:     hidden_block_count_z
      - .offset:         44
        .size:           2
        .value_kind:     hidden_group_size_x
      - .offset:         46
        .size:           2
        .value_kind:     hidden_group_size_y
      - .offset:         48
        .size:           2
        .value_kind:     hidden_group_size_z
      - .offset:         50
        .size:           2
        .value_kind:     hidden_remainder_x
      - .offset:         52
        .size:           2
        .value_kind:     hidden_remainder_y
      - .offset:         54
        .size:           2
        .value_kind:     hidden_remainder_z
      - .offset:         72
        .size:           8
        .value_kind:     hidden_global_offset_x
      - .offset:         80
        .size:           8
        .value_kind:     hidden_global_offset_y
      - .offset:         88
        .size:           8
        .value_kind:     hidden_global_offset_z
      - .offset:         96
        .size:           2
        .value_kind:     hidden_grid_dims
    .group_segment_fixed_size: 512
    .kernarg_segment_align: 8
    .kernarg_segment_size: 288
    .language:       OpenCL C
    .language_version:
      - 2
      - 0
    .max_flat_workgroup_size: 1024
    .name:           _Z14LLGemm1_kernelIN3c108BFloat16ELi4EEvPKT_S4_PS2_i
    .private_segment_fixed_size: 0
    .sgpr_count:     18
    .sgpr_spill_count: 0
    .symbol:         _Z14LLGemm1_kernelIN3c108BFloat16ELi4EEvPKT_S4_PS2_i.kd
    .uniform_work_group_size: 1
    .uses_dynamic_stack: false
    .vgpr_count:     41
    .vgpr_spill_count: 0
    .wavefront_size: 32
    .workgroup_processor_mode: 1
  - .args:
      - .address_space:  global
        .offset:         0
        .size:           8
        .value_kind:     global_buffer
      - .address_space:  global
        .offset:         8
        .size:           8
        .value_kind:     global_buffer
      - .address_space:  global
        .offset:         16
        .size:           8
        .value_kind:     global_buffer
      - .offset:         24
        .size:           4
        .value_kind:     by_value
      - .offset:         32
        .size:           4
        .value_kind:     hidden_block_count_x
      - .offset:         36
        .size:           4
        .value_kind:     hidden_block_count_y
      - .offset:         40
        .size:           4
        .value_kind:     hidden_block_count_z
      - .offset:         44
        .size:           2
        .value_kind:     hidden_group_size_x
      - .offset:         46
        .size:           2
        .value_kind:     hidden_group_size_y
      - .offset:         48
        .size:           2
        .value_kind:     hidden_group_size_z
      - .offset:         50
        .size:           2
        .value_kind:     hidden_remainder_x
      - .offset:         52
        .size:           2
        .value_kind:     hidden_remainder_y
      - .offset:         54
        .size:           2
        .value_kind:     hidden_remainder_z
      - .offset:         72
        .size:           8
        .value_kind:     hidden_global_offset_x
      - .offset:         80
        .size:           8
        .value_kind:     hidden_global_offset_y
      - .offset:         88
        .size:           8
        .value_kind:     hidden_global_offset_z
      - .offset:         96
        .size:           2
        .value_kind:     hidden_grid_dims
    .group_segment_fixed_size: 1024
    .kernarg_segment_align: 8
    .kernarg_segment_size: 288
    .language:       OpenCL C
    .language_version:
      - 2
      - 0
    .max_flat_workgroup_size: 1024
    .name:           _Z14LLGemm1_kernelIN3c108BFloat16ELi8EEvPKT_S4_PS2_i
    .private_segment_fixed_size: 0
    .sgpr_count:     18
    .sgpr_spill_count: 0
    .symbol:         _Z14LLGemm1_kernelIN3c108BFloat16ELi8EEvPKT_S4_PS2_i.kd
    .uniform_work_group_size: 1
    .uses_dynamic_stack: false
    .vgpr_count:     57
    .vgpr_spill_count: 0
    .wavefront_size: 32
    .workgroup_processor_mode: 1
  - .args:
      - .address_space:  global
        .offset:         0
        .size:           8
        .value_kind:     global_buffer
      - .address_space:  global
        .offset:         8
        .size:           8
        .value_kind:     global_buffer
      - .address_space:  global
        .offset:         16
        .size:           8
        .value_kind:     global_buffer
      - .offset:         24
        .size:           4
        .value_kind:     by_value
      - .offset:         32
        .size:           4
        .value_kind:     hidden_block_count_x
      - .offset:         36
        .size:           4
        .value_kind:     hidden_block_count_y
      - .offset:         40
        .size:           4
        .value_kind:     hidden_block_count_z
      - .offset:         44
        .size:           2
        .value_kind:     hidden_group_size_x
      - .offset:         46
        .size:           2
        .value_kind:     hidden_group_size_y
      - .offset:         48
        .size:           2
        .value_kind:     hidden_group_size_z
      - .offset:         50
        .size:           2
        .value_kind:     hidden_remainder_x
      - .offset:         52
        .size:           2
        .value_kind:     hidden_remainder_y
      - .offset:         54
        .size:           2
        .value_kind:     hidden_remainder_z
      - .offset:         72
        .size:           8
        .value_kind:     hidden_global_offset_x
      - .offset:         80
        .size:           8
        .value_kind:     hidden_global_offset_y
      - .offset:         88
        .size:           8
        .value_kind:     hidden_global_offset_z
      - .offset:         96
        .size:           2
        .value_kind:     hidden_grid_dims
    .group_segment_fixed_size: 2048
    .kernarg_segment_align: 8
    .kernarg_segment_size: 288
    .language:       OpenCL C
    .language_version:
      - 2
      - 0
    .max_flat_workgroup_size: 1024
    .name:           _Z14LLGemm1_kernelIN3c108BFloat16ELi16EEvPKT_S4_PS2_i
    .private_segment_fixed_size: 0
    .sgpr_count:     18
    .sgpr_spill_count: 0
    .symbol:         _Z14LLGemm1_kernelIN3c108BFloat16ELi16EEvPKT_S4_PS2_i.kd
    .uniform_work_group_size: 1
    .uses_dynamic_stack: false
    .vgpr_count:     88
    .vgpr_spill_count: 0
    .wavefront_size: 32
    .workgroup_processor_mode: 1
  - .args:
      - .offset:         0
        .size:           4
        .value_kind:     by_value
      - .offset:         4
        .size:           4
        .value_kind:     by_value
      - .address_space:  global
        .offset:         8
        .size:           8
        .value_kind:     global_buffer
      - .actual_access:  read_only
        .address_space:  global
        .offset:         16
        .size:           8
        .value_kind:     global_buffer
      - .address_space:  global
        .offset:         24
        .size:           8
        .value_kind:     global_buffer
      - .offset:         32
        .size:           4
        .value_kind:     by_value
      - .offset:         36
        .size:           4
        .value_kind:     by_value
      - .offset:         40
        .size:           4
        .value_kind:     hidden_block_count_x
      - .offset:         44
        .size:           4
        .value_kind:     hidden_block_count_y
      - .offset:         48
        .size:           4
        .value_kind:     hidden_block_count_z
      - .offset:         52
        .size:           2
        .value_kind:     hidden_group_size_x
      - .offset:         54
        .size:           2
        .value_kind:     hidden_group_size_y
      - .offset:         56
        .size:           2
        .value_kind:     hidden_group_size_z
      - .offset:         58
        .size:           2
        .value_kind:     hidden_remainder_x
      - .offset:         60
        .size:           2
        .value_kind:     hidden_remainder_y
      - .offset:         62
        .size:           2
        .value_kind:     hidden_remainder_z
      - .offset:         80
        .size:           8
        .value_kind:     hidden_global_offset_x
      - .offset:         88
        .size:           8
        .value_kind:     hidden_global_offset_y
      - .offset:         96
        .size:           8
        .value_kind:     hidden_global_offset_z
      - .offset:         104
        .size:           2
        .value_kind:     hidden_grid_dims
      - .offset:         120
        .size:           8
        .value_kind:     hidden_hostcall_buffer
    .group_segment_fixed_size: 0
    .kernarg_segment_align: 8
    .kernarg_segment_size: 296
    .language:       OpenCL C
    .language_version:
      - 2
      - 0
    .max_flat_workgroup_size: 1024
    .name:           _Z16wvSplitK_hf_sml_I6__halfLi64ELi2ELi16ELi8ELi2ELi1EEviiPKT_S3_PS1_ii
    .private_segment_fixed_size: 64
    .sgpr_count:     36
    .sgpr_spill_count: 0
    .symbol:         _Z16wvSplitK_hf_sml_I6__halfLi64ELi2ELi16ELi8ELi2ELi1EEviiPKT_S3_PS1_ii.kd
    .uniform_work_group_size: 1
    .uses_dynamic_stack: false
    .vgpr_count:     41
    .vgpr_spill_count: 0
    .wavefront_size: 32
    .workgroup_processor_mode: 1
  - .args:
      - .offset:         0
        .size:           4
        .value_kind:     by_value
      - .offset:         4
        .size:           4
        .value_kind:     by_value
      - .address_space:  global
        .offset:         8
        .size:           8
        .value_kind:     global_buffer
      - .actual_access:  read_only
        .address_space:  global
        .offset:         16
        .size:           8
        .value_kind:     global_buffer
      - .address_space:  global
        .offset:         24
        .size:           8
        .value_kind:     global_buffer
      - .offset:         32
        .size:           4
        .value_kind:     by_value
      - .offset:         36
        .size:           4
        .value_kind:     by_value
      - .offset:         40
        .size:           4
        .value_kind:     hidden_block_count_x
      - .offset:         44
        .size:           4
        .value_kind:     hidden_block_count_y
      - .offset:         48
        .size:           4
        .value_kind:     hidden_block_count_z
      - .offset:         52
        .size:           2
        .value_kind:     hidden_group_size_x
      - .offset:         54
        .size:           2
        .value_kind:     hidden_group_size_y
      - .offset:         56
        .size:           2
        .value_kind:     hidden_group_size_z
      - .offset:         58
        .size:           2
        .value_kind:     hidden_remainder_x
      - .offset:         60
        .size:           2
        .value_kind:     hidden_remainder_y
      - .offset:         62
        .size:           2
        .value_kind:     hidden_remainder_z
      - .offset:         80
        .size:           8
        .value_kind:     hidden_global_offset_x
      - .offset:         88
        .size:           8
        .value_kind:     hidden_global_offset_y
      - .offset:         96
        .size:           8
        .value_kind:     hidden_global_offset_z
      - .offset:         104
        .size:           2
        .value_kind:     hidden_grid_dims
      - .offset:         120
        .size:           8
        .value_kind:     hidden_hostcall_buffer
    .group_segment_fixed_size: 0
    .kernarg_segment_align: 8
    .kernarg_segment_size: 296
    .language:       OpenCL C
    .language_version:
      - 2
      - 0
    .max_flat_workgroup_size: 1024
    .name:           _Z12wvSplitK_hf_I6__halfLi64ELi2ELi16ELi8ELi2ELi1EEviiPKT_S3_PS1_ii
    .private_segment_fixed_size: 64
    .sgpr_count:     36
    .sgpr_spill_count: 0
    .symbol:         _Z12wvSplitK_hf_I6__halfLi64ELi2ELi16ELi8ELi2ELi1EEviiPKT_S3_PS1_ii.kd
    .uniform_work_group_size: 1
    .uses_dynamic_stack: false
    .vgpr_count:     41
    .vgpr_spill_count: 0
    .wavefront_size: 32
    .workgroup_processor_mode: 1
  - .args:
      - .offset:         0
        .size:           4
        .value_kind:     by_value
      - .offset:         4
        .size:           4
        .value_kind:     by_value
      - .address_space:  global
        .offset:         8
        .size:           8
        .value_kind:     global_buffer
      - .actual_access:  read_only
        .address_space:  global
        .offset:         16
        .size:           8
        .value_kind:     global_buffer
      - .address_space:  global
        .offset:         24
        .size:           8
        .value_kind:     global_buffer
      - .offset:         32
        .size:           4
        .value_kind:     by_value
      - .offset:         36
        .size:           4
        .value_kind:     by_value
      - .offset:         40
        .size:           4
        .value_kind:     hidden_block_count_x
      - .offset:         44
        .size:           4
        .value_kind:     hidden_block_count_y
      - .offset:         48
        .size:           4
        .value_kind:     hidden_block_count_z
      - .offset:         52
        .size:           2
        .value_kind:     hidden_group_size_x
      - .offset:         54
        .size:           2
        .value_kind:     hidden_group_size_y
      - .offset:         56
        .size:           2
        .value_kind:     hidden_group_size_z
      - .offset:         58
        .size:           2
        .value_kind:     hidden_remainder_x
      - .offset:         60
        .size:           2
        .value_kind:     hidden_remainder_y
      - .offset:         62
        .size:           2
        .value_kind:     hidden_remainder_z
      - .offset:         80
        .size:           8
        .value_kind:     hidden_global_offset_x
      - .offset:         88
        .size:           8
        .value_kind:     hidden_global_offset_y
      - .offset:         96
        .size:           8
        .value_kind:     hidden_global_offset_z
      - .offset:         104
        .size:           2
        .value_kind:     hidden_grid_dims
      - .offset:         120
        .size:           8
        .value_kind:     hidden_hostcall_buffer
    .group_segment_fixed_size: 0
    .kernarg_segment_align: 8
    .kernarg_segment_size: 296
    .language:       OpenCL C
    .language_version:
      - 2
      - 0
    .max_flat_workgroup_size: 1024
    .name:           _Z16wvSplitK_hf_big_I6__halfLi64ELi2ELi16ELi8ELi2ELi1EEviiPKT_S3_PS1_ii
    .private_segment_fixed_size: 64
    .sgpr_count:     36
    .sgpr_spill_count: 0
    .symbol:         _Z16wvSplitK_hf_big_I6__halfLi64ELi2ELi16ELi8ELi2ELi1EEviiPKT_S3_PS1_ii.kd
    .uniform_work_group_size: 1
    .uses_dynamic_stack: false
    .vgpr_count:     41
    .vgpr_spill_count: 0
    .wavefront_size: 32
    .workgroup_processor_mode: 1
  - .args:
      - .offset:         0
        .size:           4
        .value_kind:     by_value
      - .offset:         4
        .size:           4
        .value_kind:     by_value
      - .address_space:  global
        .offset:         8
        .size:           8
        .value_kind:     global_buffer
      - .actual_access:  read_only
        .address_space:  global
        .offset:         16
        .size:           8
        .value_kind:     global_buffer
      - .address_space:  global
        .offset:         24
        .size:           8
        .value_kind:     global_buffer
      - .offset:         32
        .size:           4
        .value_kind:     by_value
      - .offset:         36
        .size:           4
        .value_kind:     by_value
      - .offset:         40
        .size:           4
        .value_kind:     hidden_block_count_x
      - .offset:         44
        .size:           4
        .value_kind:     hidden_block_count_y
      - .offset:         48
        .size:           4
        .value_kind:     hidden_block_count_z
      - .offset:         52
        .size:           2
        .value_kind:     hidden_group_size_x
      - .offset:         54
        .size:           2
        .value_kind:     hidden_group_size_y
      - .offset:         56
        .size:           2
        .value_kind:     hidden_group_size_z
      - .offset:         58
        .size:           2
        .value_kind:     hidden_remainder_x
      - .offset:         60
        .size:           2
        .value_kind:     hidden_remainder_y
      - .offset:         62
        .size:           2
        .value_kind:     hidden_remainder_z
      - .offset:         80
        .size:           8
        .value_kind:     hidden_global_offset_x
      - .offset:         88
        .size:           8
        .value_kind:     hidden_global_offset_y
      - .offset:         96
        .size:           8
        .value_kind:     hidden_global_offset_z
      - .offset:         104
        .size:           2
        .value_kind:     hidden_grid_dims
      - .offset:         120
        .size:           8
        .value_kind:     hidden_hostcall_buffer
    .group_segment_fixed_size: 0
    .kernarg_segment_align: 8
    .kernarg_segment_size: 296
    .language:       OpenCL C
    .language_version:
      - 2
      - 0
    .max_flat_workgroup_size: 1024
    .name:           _Z16wvSplitK_hf_sml_I6__halfLi64ELi2ELi16ELi8ELi2ELi2EEviiPKT_S3_PS1_ii
    .private_segment_fixed_size: 64
    .sgpr_count:     36
    .sgpr_spill_count: 0
    .symbol:         _Z16wvSplitK_hf_sml_I6__halfLi64ELi2ELi16ELi8ELi2ELi2EEviiPKT_S3_PS1_ii.kd
    .uniform_work_group_size: 1
    .uses_dynamic_stack: false
    .vgpr_count:     41
    .vgpr_spill_count: 0
    .wavefront_size: 32
    .workgroup_processor_mode: 1
  - .args:
      - .offset:         0
        .size:           4
        .value_kind:     by_value
      - .offset:         4
        .size:           4
        .value_kind:     by_value
      - .address_space:  global
        .offset:         8
        .size:           8
        .value_kind:     global_buffer
      - .actual_access:  read_only
        .address_space:  global
        .offset:         16
        .size:           8
        .value_kind:     global_buffer
      - .address_space:  global
        .offset:         24
        .size:           8
        .value_kind:     global_buffer
      - .offset:         32
        .size:           4
        .value_kind:     by_value
      - .offset:         36
        .size:           4
        .value_kind:     by_value
      - .offset:         40
        .size:           4
        .value_kind:     hidden_block_count_x
      - .offset:         44
        .size:           4
        .value_kind:     hidden_block_count_y
      - .offset:         48
        .size:           4
        .value_kind:     hidden_block_count_z
      - .offset:         52
        .size:           2
        .value_kind:     hidden_group_size_x
      - .offset:         54
        .size:           2
        .value_kind:     hidden_group_size_y
      - .offset:         56
        .size:           2
        .value_kind:     hidden_group_size_z
      - .offset:         58
        .size:           2
        .value_kind:     hidden_remainder_x
      - .offset:         60
        .size:           2
        .value_kind:     hidden_remainder_y
      - .offset:         62
        .size:           2
        .value_kind:     hidden_remainder_z
      - .offset:         80
        .size:           8
        .value_kind:     hidden_global_offset_x
      - .offset:         88
        .size:           8
        .value_kind:     hidden_global_offset_y
      - .offset:         96
        .size:           8
        .value_kind:     hidden_global_offset_z
      - .offset:         104
        .size:           2
        .value_kind:     hidden_grid_dims
      - .offset:         120
        .size:           8
        .value_kind:     hidden_hostcall_buffer
    .group_segment_fixed_size: 0
    .kernarg_segment_align: 8
    .kernarg_segment_size: 296
    .language:       OpenCL C
    .language_version:
      - 2
      - 0
    .max_flat_workgroup_size: 1024
    .name:           _Z12wvSplitK_hf_I6__halfLi64ELi2ELi16ELi8ELi2ELi2EEviiPKT_S3_PS1_ii
    .private_segment_fixed_size: 64
    .sgpr_count:     36
    .sgpr_spill_count: 0
    .symbol:         _Z12wvSplitK_hf_I6__halfLi64ELi2ELi16ELi8ELi2ELi2EEviiPKT_S3_PS1_ii.kd
    .uniform_work_group_size: 1
    .uses_dynamic_stack: false
    .vgpr_count:     41
    .vgpr_spill_count: 0
    .wavefront_size: 32
    .workgroup_processor_mode: 1
  - .args:
      - .offset:         0
        .size:           4
        .value_kind:     by_value
      - .offset:         4
        .size:           4
        .value_kind:     by_value
      - .address_space:  global
        .offset:         8
        .size:           8
        .value_kind:     global_buffer
      - .actual_access:  read_only
        .address_space:  global
        .offset:         16
        .size:           8
        .value_kind:     global_buffer
      - .address_space:  global
        .offset:         24
        .size:           8
        .value_kind:     global_buffer
      - .offset:         32
        .size:           4
        .value_kind:     by_value
      - .offset:         36
        .size:           4
        .value_kind:     by_value
      - .offset:         40
        .size:           4
        .value_kind:     hidden_block_count_x
      - .offset:         44
        .size:           4
        .value_kind:     hidden_block_count_y
      - .offset:         48
        .size:           4
        .value_kind:     hidden_block_count_z
      - .offset:         52
        .size:           2
        .value_kind:     hidden_group_size_x
      - .offset:         54
        .size:           2
        .value_kind:     hidden_group_size_y
      - .offset:         56
        .size:           2
        .value_kind:     hidden_group_size_z
      - .offset:         58
        .size:           2
        .value_kind:     hidden_remainder_x
      - .offset:         60
        .size:           2
        .value_kind:     hidden_remainder_y
      - .offset:         62
        .size:           2
        .value_kind:     hidden_remainder_z
      - .offset:         80
        .size:           8
        .value_kind:     hidden_global_offset_x
      - .offset:         88
        .size:           8
        .value_kind:     hidden_global_offset_y
      - .offset:         96
        .size:           8
        .value_kind:     hidden_global_offset_z
      - .offset:         104
        .size:           2
        .value_kind:     hidden_grid_dims
      - .offset:         120
        .size:           8
        .value_kind:     hidden_hostcall_buffer
    .group_segment_fixed_size: 0
    .kernarg_segment_align: 8
    .kernarg_segment_size: 296
    .language:       OpenCL C
    .language_version:
      - 2
      - 0
    .max_flat_workgroup_size: 1024
    .name:           _Z16wvSplitK_hf_big_I6__halfLi64ELi2ELi16ELi8ELi2ELi2EEviiPKT_S3_PS1_ii
    .private_segment_fixed_size: 64
    .sgpr_count:     36
    .sgpr_spill_count: 0
    .symbol:         _Z16wvSplitK_hf_big_I6__halfLi64ELi2ELi16ELi8ELi2ELi2EEviiPKT_S3_PS1_ii.kd
    .uniform_work_group_size: 1
    .uses_dynamic_stack: false
    .vgpr_count:     41
    .vgpr_spill_count: 0
    .wavefront_size: 32
    .workgroup_processor_mode: 1
  - .args:
      - .offset:         0
        .size:           4
        .value_kind:     by_value
      - .offset:         4
        .size:           4
        .value_kind:     by_value
      - .address_space:  global
        .offset:         8
        .size:           8
        .value_kind:     global_buffer
      - .actual_access:  read_only
        .address_space:  global
        .offset:         16
        .size:           8
        .value_kind:     global_buffer
      - .address_space:  global
        .offset:         24
        .size:           8
        .value_kind:     global_buffer
      - .offset:         32
        .size:           4
        .value_kind:     by_value
      - .offset:         36
        .size:           4
        .value_kind:     by_value
      - .offset:         40
        .size:           4
        .value_kind:     hidden_block_count_x
      - .offset:         44
        .size:           4
        .value_kind:     hidden_block_count_y
      - .offset:         48
        .size:           4
        .value_kind:     hidden_block_count_z
      - .offset:         52
        .size:           2
        .value_kind:     hidden_group_size_x
      - .offset:         54
        .size:           2
        .value_kind:     hidden_group_size_y
      - .offset:         56
        .size:           2
        .value_kind:     hidden_group_size_z
      - .offset:         58
        .size:           2
        .value_kind:     hidden_remainder_x
      - .offset:         60
        .size:           2
        .value_kind:     hidden_remainder_y
      - .offset:         62
        .size:           2
        .value_kind:     hidden_remainder_z
      - .offset:         80
        .size:           8
        .value_kind:     hidden_global_offset_x
      - .offset:         88
        .size:           8
        .value_kind:     hidden_global_offset_y
      - .offset:         96
        .size:           8
        .value_kind:     hidden_global_offset_z
      - .offset:         104
        .size:           2
        .value_kind:     hidden_grid_dims
      - .offset:         120
        .size:           8
        .value_kind:     hidden_hostcall_buffer
    .group_segment_fixed_size: 0
    .kernarg_segment_align: 8
    .kernarg_segment_size: 296
    .language:       OpenCL C
    .language_version:
      - 2
      - 0
    .max_flat_workgroup_size: 1024
    .name:           _Z16wvSplitK_hf_sml_I6__halfLi64ELi4ELi16ELi8ELi1ELi3EEviiPKT_S3_PS1_ii
    .private_segment_fixed_size: 64
    .sgpr_count:     36
    .sgpr_spill_count: 0
    .symbol:         _Z16wvSplitK_hf_sml_I6__halfLi64ELi4ELi16ELi8ELi1ELi3EEviiPKT_S3_PS1_ii.kd
    .uniform_work_group_size: 1
    .uses_dynamic_stack: false
    .vgpr_count:     41
    .vgpr_spill_count: 0
    .wavefront_size: 32
    .workgroup_processor_mode: 1
  - .args:
      - .offset:         0
        .size:           4
        .value_kind:     by_value
      - .offset:         4
        .size:           4
        .value_kind:     by_value
      - .address_space:  global
        .offset:         8
        .size:           8
        .value_kind:     global_buffer
      - .actual_access:  read_only
        .address_space:  global
        .offset:         16
        .size:           8
        .value_kind:     global_buffer
      - .address_space:  global
        .offset:         24
        .size:           8
        .value_kind:     global_buffer
      - .offset:         32
        .size:           4
        .value_kind:     by_value
      - .offset:         36
        .size:           4
        .value_kind:     by_value
      - .offset:         40
        .size:           4
        .value_kind:     hidden_block_count_x
      - .offset:         44
        .size:           4
        .value_kind:     hidden_block_count_y
      - .offset:         48
        .size:           4
        .value_kind:     hidden_block_count_z
      - .offset:         52
        .size:           2
        .value_kind:     hidden_group_size_x
      - .offset:         54
        .size:           2
        .value_kind:     hidden_group_size_y
      - .offset:         56
        .size:           2
        .value_kind:     hidden_group_size_z
      - .offset:         58
        .size:           2
        .value_kind:     hidden_remainder_x
      - .offset:         60
        .size:           2
        .value_kind:     hidden_remainder_y
      - .offset:         62
        .size:           2
        .value_kind:     hidden_remainder_z
      - .offset:         80
        .size:           8
        .value_kind:     hidden_global_offset_x
      - .offset:         88
        .size:           8
        .value_kind:     hidden_global_offset_y
      - .offset:         96
        .size:           8
        .value_kind:     hidden_global_offset_z
      - .offset:         104
        .size:           2
        .value_kind:     hidden_grid_dims
      - .offset:         120
        .size:           8
        .value_kind:     hidden_hostcall_buffer
    .group_segment_fixed_size: 0
    .kernarg_segment_align: 8
    .kernarg_segment_size: 296
    .language:       OpenCL C
    .language_version:
      - 2
      - 0
    .max_flat_workgroup_size: 1024
    .name:           _Z12wvSplitK_hf_I6__halfLi64ELi7ELi16ELi8ELi1ELi3EEviiPKT_S3_PS1_ii
    .private_segment_fixed_size: 64
    .sgpr_count:     36
    .sgpr_spill_count: 0
    .symbol:         _Z12wvSplitK_hf_I6__halfLi64ELi7ELi16ELi8ELi1ELi3EEviiPKT_S3_PS1_ii.kd
    .uniform_work_group_size: 1
    .uses_dynamic_stack: false
    .vgpr_count:     41
    .vgpr_spill_count: 0
    .wavefront_size: 32
    .workgroup_processor_mode: 1
  - .args:
      - .offset:         0
        .size:           4
        .value_kind:     by_value
      - .offset:         4
        .size:           4
        .value_kind:     by_value
      - .address_space:  global
        .offset:         8
        .size:           8
        .value_kind:     global_buffer
      - .actual_access:  read_only
        .address_space:  global
        .offset:         16
        .size:           8
        .value_kind:     global_buffer
      - .address_space:  global
        .offset:         24
        .size:           8
        .value_kind:     global_buffer
      - .offset:         32
        .size:           4
        .value_kind:     by_value
      - .offset:         36
        .size:           4
        .value_kind:     by_value
      - .offset:         40
        .size:           4
        .value_kind:     hidden_block_count_x
      - .offset:         44
        .size:           4
        .value_kind:     hidden_block_count_y
      - .offset:         48
        .size:           4
        .value_kind:     hidden_block_count_z
      - .offset:         52
        .size:           2
        .value_kind:     hidden_group_size_x
      - .offset:         54
        .size:           2
        .value_kind:     hidden_group_size_y
      - .offset:         56
        .size:           2
        .value_kind:     hidden_group_size_z
      - .offset:         58
        .size:           2
        .value_kind:     hidden_remainder_x
      - .offset:         60
        .size:           2
        .value_kind:     hidden_remainder_y
      - .offset:         62
        .size:           2
        .value_kind:     hidden_remainder_z
      - .offset:         80
        .size:           8
        .value_kind:     hidden_global_offset_x
      - .offset:         88
        .size:           8
        .value_kind:     hidden_global_offset_y
      - .offset:         96
        .size:           8
        .value_kind:     hidden_global_offset_z
      - .offset:         104
        .size:           2
        .value_kind:     hidden_grid_dims
      - .offset:         120
        .size:           8
        .value_kind:     hidden_hostcall_buffer
    .group_segment_fixed_size: 0
    .kernarg_segment_align: 8
    .kernarg_segment_size: 296
    .language:       OpenCL C
    .language_version:
      - 2
      - 0
    .max_flat_workgroup_size: 1024
    .name:           _Z16wvSplitK_hf_big_I6__halfLi64ELi7ELi16ELi8ELi1ELi3EEviiPKT_S3_PS1_ii
    .private_segment_fixed_size: 64
    .sgpr_count:     36
    .sgpr_spill_count: 0
    .symbol:         _Z16wvSplitK_hf_big_I6__halfLi64ELi7ELi16ELi8ELi1ELi3EEviiPKT_S3_PS1_ii.kd
    .uniform_work_group_size: 1
    .uses_dynamic_stack: false
    .vgpr_count:     41
    .vgpr_spill_count: 0
    .wavefront_size: 32
    .workgroup_processor_mode: 1
  - .args:
      - .offset:         0
        .size:           4
        .value_kind:     by_value
      - .offset:         4
        .size:           4
        .value_kind:     by_value
      - .address_space:  global
        .offset:         8
        .size:           8
        .value_kind:     global_buffer
      - .actual_access:  read_only
        .address_space:  global
        .offset:         16
        .size:           8
        .value_kind:     global_buffer
      - .address_space:  global
        .offset:         24
        .size:           8
        .value_kind:     global_buffer
      - .offset:         32
        .size:           4
        .value_kind:     by_value
      - .offset:         36
        .size:           4
        .value_kind:     by_value
      - .offset:         40
        .size:           4
        .value_kind:     hidden_block_count_x
      - .offset:         44
        .size:           4
        .value_kind:     hidden_block_count_y
      - .offset:         48
        .size:           4
        .value_kind:     hidden_block_count_z
      - .offset:         52
        .size:           2
        .value_kind:     hidden_group_size_x
      - .offset:         54
        .size:           2
        .value_kind:     hidden_group_size_y
      - .offset:         56
        .size:           2
        .value_kind:     hidden_group_size_z
      - .offset:         58
        .size:           2
        .value_kind:     hidden_remainder_x
      - .offset:         60
        .size:           2
        .value_kind:     hidden_remainder_y
      - .offset:         62
        .size:           2
        .value_kind:     hidden_remainder_z
      - .offset:         80
        .size:           8
        .value_kind:     hidden_global_offset_x
      - .offset:         88
        .size:           8
        .value_kind:     hidden_global_offset_y
      - .offset:         96
        .size:           8
        .value_kind:     hidden_global_offset_z
      - .offset:         104
        .size:           2
        .value_kind:     hidden_grid_dims
      - .offset:         120
        .size:           8
        .value_kind:     hidden_hostcall_buffer
    .group_segment_fixed_size: 0
    .kernarg_segment_align: 8
    .kernarg_segment_size: 296
    .language:       OpenCL C
    .language_version:
      - 2
      - 0
    .max_flat_workgroup_size: 1024
    .name:           _Z16wvSplitK_hf_sml_I6__halfLi64ELi4ELi16ELi8ELi1ELi4EEviiPKT_S3_PS1_ii
    .private_segment_fixed_size: 64
    .sgpr_count:     36
    .sgpr_spill_count: 0
    .symbol:         _Z16wvSplitK_hf_sml_I6__halfLi64ELi4ELi16ELi8ELi1ELi4EEviiPKT_S3_PS1_ii.kd
    .uniform_work_group_size: 1
    .uses_dynamic_stack: false
    .vgpr_count:     41
    .vgpr_spill_count: 0
    .wavefront_size: 32
    .workgroup_processor_mode: 1
  - .args:
      - .offset:         0
        .size:           4
        .value_kind:     by_value
      - .offset:         4
        .size:           4
        .value_kind:     by_value
      - .address_space:  global
        .offset:         8
        .size:           8
        .value_kind:     global_buffer
      - .actual_access:  read_only
        .address_space:  global
        .offset:         16
        .size:           8
        .value_kind:     global_buffer
      - .address_space:  global
        .offset:         24
        .size:           8
        .value_kind:     global_buffer
      - .offset:         32
        .size:           4
        .value_kind:     by_value
      - .offset:         36
        .size:           4
        .value_kind:     by_value
      - .offset:         40
        .size:           4
        .value_kind:     hidden_block_count_x
      - .offset:         44
        .size:           4
        .value_kind:     hidden_block_count_y
      - .offset:         48
        .size:           4
        .value_kind:     hidden_block_count_z
      - .offset:         52
        .size:           2
        .value_kind:     hidden_group_size_x
      - .offset:         54
        .size:           2
        .value_kind:     hidden_group_size_y
      - .offset:         56
        .size:           2
        .value_kind:     hidden_group_size_z
      - .offset:         58
        .size:           2
        .value_kind:     hidden_remainder_x
      - .offset:         60
        .size:           2
        .value_kind:     hidden_remainder_y
      - .offset:         62
        .size:           2
        .value_kind:     hidden_remainder_z
      - .offset:         80
        .size:           8
        .value_kind:     hidden_global_offset_x
      - .offset:         88
        .size:           8
        .value_kind:     hidden_global_offset_y
      - .offset:         96
        .size:           8
        .value_kind:     hidden_global_offset_z
      - .offset:         104
        .size:           2
        .value_kind:     hidden_grid_dims
      - .offset:         120
        .size:           8
        .value_kind:     hidden_hostcall_buffer
    .group_segment_fixed_size: 0
    .kernarg_segment_align: 8
    .kernarg_segment_size: 296
    .language:       OpenCL C
    .language_version:
      - 2
      - 0
    .max_flat_workgroup_size: 1024
    .name:           _Z12wvSplitK_hf_I6__halfLi64ELi7ELi16ELi8ELi1ELi4EEviiPKT_S3_PS1_ii
    .private_segment_fixed_size: 64
    .sgpr_count:     36
    .sgpr_spill_count: 0
    .symbol:         _Z12wvSplitK_hf_I6__halfLi64ELi7ELi16ELi8ELi1ELi4EEviiPKT_S3_PS1_ii.kd
    .uniform_work_group_size: 1
    .uses_dynamic_stack: false
    .vgpr_count:     41
    .vgpr_spill_count: 0
    .wavefront_size: 32
    .workgroup_processor_mode: 1
  - .args:
      - .offset:         0
        .size:           4
        .value_kind:     by_value
      - .offset:         4
        .size:           4
        .value_kind:     by_value
      - .address_space:  global
        .offset:         8
        .size:           8
        .value_kind:     global_buffer
      - .actual_access:  read_only
        .address_space:  global
        .offset:         16
        .size:           8
        .value_kind:     global_buffer
      - .address_space:  global
        .offset:         24
        .size:           8
        .value_kind:     global_buffer
      - .offset:         32
        .size:           4
        .value_kind:     by_value
      - .offset:         36
        .size:           4
        .value_kind:     by_value
      - .offset:         40
        .size:           4
        .value_kind:     hidden_block_count_x
      - .offset:         44
        .size:           4
        .value_kind:     hidden_block_count_y
      - .offset:         48
        .size:           4
        .value_kind:     hidden_block_count_z
      - .offset:         52
        .size:           2
        .value_kind:     hidden_group_size_x
      - .offset:         54
        .size:           2
        .value_kind:     hidden_group_size_y
      - .offset:         56
        .size:           2
        .value_kind:     hidden_group_size_z
      - .offset:         58
        .size:           2
        .value_kind:     hidden_remainder_x
      - .offset:         60
        .size:           2
        .value_kind:     hidden_remainder_y
      - .offset:         62
        .size:           2
        .value_kind:     hidden_remainder_z
      - .offset:         80
        .size:           8
        .value_kind:     hidden_global_offset_x
      - .offset:         88
        .size:           8
        .value_kind:     hidden_global_offset_y
      - .offset:         96
        .size:           8
        .value_kind:     hidden_global_offset_z
      - .offset:         104
        .size:           2
        .value_kind:     hidden_grid_dims
      - .offset:         120
        .size:           8
        .value_kind:     hidden_hostcall_buffer
    .group_segment_fixed_size: 0
    .kernarg_segment_align: 8
    .kernarg_segment_size: 296
    .language:       OpenCL C
    .language_version:
      - 2
      - 0
    .max_flat_workgroup_size: 1024
    .name:           _Z16wvSplitK_hf_big_I6__halfLi64ELi7ELi16ELi8ELi1ELi4EEviiPKT_S3_PS1_ii
    .private_segment_fixed_size: 64
    .sgpr_count:     36
    .sgpr_spill_count: 0
    .symbol:         _Z16wvSplitK_hf_big_I6__halfLi64ELi7ELi16ELi8ELi1ELi4EEviiPKT_S3_PS1_ii.kd
    .uniform_work_group_size: 1
    .uses_dynamic_stack: false
    .vgpr_count:     41
    .vgpr_spill_count: 0
    .wavefront_size: 32
    .workgroup_processor_mode: 1
  - .args:
      - .offset:         0
        .size:           4
        .value_kind:     by_value
      - .offset:         4
        .size:           4
        .value_kind:     by_value
      - .address_space:  global
        .offset:         8
        .size:           8
        .value_kind:     global_buffer
      - .actual_access:  read_only
        .address_space:  global
        .offset:         16
        .size:           8
        .value_kind:     global_buffer
      - .address_space:  global
        .offset:         24
        .size:           8
        .value_kind:     global_buffer
      - .offset:         32
        .size:           4
        .value_kind:     by_value
      - .offset:         36
        .size:           4
        .value_kind:     by_value
      - .offset:         40
        .size:           4
        .value_kind:     hidden_block_count_x
      - .offset:         44
        .size:           4
        .value_kind:     hidden_block_count_y
      - .offset:         48
        .size:           4
        .value_kind:     hidden_block_count_z
      - .offset:         52
        .size:           2
        .value_kind:     hidden_group_size_x
      - .offset:         54
        .size:           2
        .value_kind:     hidden_group_size_y
      - .offset:         56
        .size:           2
        .value_kind:     hidden_group_size_z
      - .offset:         58
        .size:           2
        .value_kind:     hidden_remainder_x
      - .offset:         60
        .size:           2
        .value_kind:     hidden_remainder_y
      - .offset:         62
        .size:           2
        .value_kind:     hidden_remainder_z
      - .offset:         80
        .size:           8
        .value_kind:     hidden_global_offset_x
      - .offset:         88
        .size:           8
        .value_kind:     hidden_global_offset_y
      - .offset:         96
        .size:           8
        .value_kind:     hidden_global_offset_z
      - .offset:         104
        .size:           2
        .value_kind:     hidden_grid_dims
      - .offset:         120
        .size:           8
        .value_kind:     hidden_hostcall_buffer
    .group_segment_fixed_size: 0
    .kernarg_segment_align: 8
    .kernarg_segment_size: 296
    .language:       OpenCL C
    .language_version:
      - 2
      - 0
    .max_flat_workgroup_size: 1024
    .name:           _Z16wvSplitK_hf_sml_I14__hip_bfloat16Li64ELi2ELi16ELi8ELi2ELi1EEviiPKT_S3_PS1_ii
    .private_segment_fixed_size: 64
    .sgpr_count:     36
    .sgpr_spill_count: 0
    .symbol:         _Z16wvSplitK_hf_sml_I14__hip_bfloat16Li64ELi2ELi16ELi8ELi2ELi1EEviiPKT_S3_PS1_ii.kd
    .uniform_work_group_size: 1
    .uses_dynamic_stack: false
    .vgpr_count:     41
    .vgpr_spill_count: 0
    .wavefront_size: 32
    .workgroup_processor_mode: 1
  - .args:
      - .offset:         0
        .size:           4
        .value_kind:     by_value
      - .offset:         4
        .size:           4
        .value_kind:     by_value
      - .address_space:  global
        .offset:         8
        .size:           8
        .value_kind:     global_buffer
      - .actual_access:  read_only
        .address_space:  global
        .offset:         16
        .size:           8
        .value_kind:     global_buffer
      - .address_space:  global
        .offset:         24
        .size:           8
        .value_kind:     global_buffer
      - .offset:         32
        .size:           4
        .value_kind:     by_value
      - .offset:         36
        .size:           4
        .value_kind:     by_value
      - .offset:         40
        .size:           4
        .value_kind:     hidden_block_count_x
      - .offset:         44
        .size:           4
        .value_kind:     hidden_block_count_y
      - .offset:         48
        .size:           4
        .value_kind:     hidden_block_count_z
      - .offset:         52
        .size:           2
        .value_kind:     hidden_group_size_x
      - .offset:         54
        .size:           2
        .value_kind:     hidden_group_size_y
      - .offset:         56
        .size:           2
        .value_kind:     hidden_group_size_z
      - .offset:         58
        .size:           2
        .value_kind:     hidden_remainder_x
      - .offset:         60
        .size:           2
        .value_kind:     hidden_remainder_y
      - .offset:         62
        .size:           2
        .value_kind:     hidden_remainder_z
      - .offset:         80
        .size:           8
        .value_kind:     hidden_global_offset_x
      - .offset:         88
        .size:           8
        .value_kind:     hidden_global_offset_y
      - .offset:         96
        .size:           8
        .value_kind:     hidden_global_offset_z
      - .offset:         104
        .size:           2
        .value_kind:     hidden_grid_dims
      - .offset:         120
        .size:           8
        .value_kind:     hidden_hostcall_buffer
    .group_segment_fixed_size: 0
    .kernarg_segment_align: 8
    .kernarg_segment_size: 296
    .language:       OpenCL C
    .language_version:
      - 2
      - 0
    .max_flat_workgroup_size: 1024
    .name:           _Z12wvSplitK_hf_I14__hip_bfloat16Li64ELi2ELi16ELi8ELi2ELi1EEviiPKT_S3_PS1_ii
    .private_segment_fixed_size: 64
    .sgpr_count:     36
    .sgpr_spill_count: 0
    .symbol:         _Z12wvSplitK_hf_I14__hip_bfloat16Li64ELi2ELi16ELi8ELi2ELi1EEviiPKT_S3_PS1_ii.kd
    .uniform_work_group_size: 1
    .uses_dynamic_stack: false
    .vgpr_count:     41
    .vgpr_spill_count: 0
    .wavefront_size: 32
    .workgroup_processor_mode: 1
  - .args:
      - .offset:         0
        .size:           4
        .value_kind:     by_value
      - .offset:         4
        .size:           4
        .value_kind:     by_value
      - .address_space:  global
        .offset:         8
        .size:           8
        .value_kind:     global_buffer
      - .actual_access:  read_only
        .address_space:  global
        .offset:         16
        .size:           8
        .value_kind:     global_buffer
      - .address_space:  global
        .offset:         24
        .size:           8
        .value_kind:     global_buffer
      - .offset:         32
        .size:           4
        .value_kind:     by_value
      - .offset:         36
        .size:           4
        .value_kind:     by_value
      - .offset:         40
        .size:           4
        .value_kind:     hidden_block_count_x
      - .offset:         44
        .size:           4
        .value_kind:     hidden_block_count_y
      - .offset:         48
        .size:           4
        .value_kind:     hidden_block_count_z
      - .offset:         52
        .size:           2
        .value_kind:     hidden_group_size_x
      - .offset:         54
        .size:           2
        .value_kind:     hidden_group_size_y
      - .offset:         56
        .size:           2
        .value_kind:     hidden_group_size_z
      - .offset:         58
        .size:           2
        .value_kind:     hidden_remainder_x
      - .offset:         60
        .size:           2
        .value_kind:     hidden_remainder_y
      - .offset:         62
        .size:           2
        .value_kind:     hidden_remainder_z
      - .offset:         80
        .size:           8
        .value_kind:     hidden_global_offset_x
      - .offset:         88
        .size:           8
        .value_kind:     hidden_global_offset_y
      - .offset:         96
        .size:           8
        .value_kind:     hidden_global_offset_z
      - .offset:         104
        .size:           2
        .value_kind:     hidden_grid_dims
      - .offset:         120
        .size:           8
        .value_kind:     hidden_hostcall_buffer
    .group_segment_fixed_size: 0
    .kernarg_segment_align: 8
    .kernarg_segment_size: 296
    .language:       OpenCL C
    .language_version:
      - 2
      - 0
    .max_flat_workgroup_size: 1024
    .name:           _Z16wvSplitK_hf_big_I14__hip_bfloat16Li64ELi2ELi16ELi8ELi2ELi1EEviiPKT_S3_PS1_ii
    .private_segment_fixed_size: 64
    .sgpr_count:     36
    .sgpr_spill_count: 0
    .symbol:         _Z16wvSplitK_hf_big_I14__hip_bfloat16Li64ELi2ELi16ELi8ELi2ELi1EEviiPKT_S3_PS1_ii.kd
    .uniform_work_group_size: 1
    .uses_dynamic_stack: false
    .vgpr_count:     41
    .vgpr_spill_count: 0
    .wavefront_size: 32
    .workgroup_processor_mode: 1
  - .args:
      - .offset:         0
        .size:           4
        .value_kind:     by_value
      - .offset:         4
        .size:           4
        .value_kind:     by_value
      - .address_space:  global
        .offset:         8
        .size:           8
        .value_kind:     global_buffer
      - .actual_access:  read_only
        .address_space:  global
        .offset:         16
        .size:           8
        .value_kind:     global_buffer
      - .address_space:  global
        .offset:         24
        .size:           8
        .value_kind:     global_buffer
      - .offset:         32
        .size:           4
        .value_kind:     by_value
      - .offset:         36
        .size:           4
        .value_kind:     by_value
      - .offset:         40
        .size:           4
        .value_kind:     hidden_block_count_x
      - .offset:         44
        .size:           4
        .value_kind:     hidden_block_count_y
      - .offset:         48
        .size:           4
        .value_kind:     hidden_block_count_z
      - .offset:         52
        .size:           2
        .value_kind:     hidden_group_size_x
      - .offset:         54
        .size:           2
        .value_kind:     hidden_group_size_y
      - .offset:         56
        .size:           2
        .value_kind:     hidden_group_size_z
      - .offset:         58
        .size:           2
        .value_kind:     hidden_remainder_x
      - .offset:         60
        .size:           2
        .value_kind:     hidden_remainder_y
      - .offset:         62
        .size:           2
        .value_kind:     hidden_remainder_z
      - .offset:         80
        .size:           8
        .value_kind:     hidden_global_offset_x
      - .offset:         88
        .size:           8
        .value_kind:     hidden_global_offset_y
      - .offset:         96
        .size:           8
        .value_kind:     hidden_global_offset_z
      - .offset:         104
        .size:           2
        .value_kind:     hidden_grid_dims
      - .offset:         120
        .size:           8
        .value_kind:     hidden_hostcall_buffer
    .group_segment_fixed_size: 0
    .kernarg_segment_align: 8
    .kernarg_segment_size: 296
    .language:       OpenCL C
    .language_version:
      - 2
      - 0
    .max_flat_workgroup_size: 1024
    .name:           _Z16wvSplitK_hf_sml_I14__hip_bfloat16Li64ELi2ELi16ELi8ELi2ELi2EEviiPKT_S3_PS1_ii
    .private_segment_fixed_size: 64
    .sgpr_count:     36
    .sgpr_spill_count: 0
    .symbol:         _Z16wvSplitK_hf_sml_I14__hip_bfloat16Li64ELi2ELi16ELi8ELi2ELi2EEviiPKT_S3_PS1_ii.kd
    .uniform_work_group_size: 1
    .uses_dynamic_stack: false
    .vgpr_count:     41
    .vgpr_spill_count: 0
    .wavefront_size: 32
    .workgroup_processor_mode: 1
  - .args:
      - .offset:         0
        .size:           4
        .value_kind:     by_value
      - .offset:         4
        .size:           4
        .value_kind:     by_value
      - .address_space:  global
        .offset:         8
        .size:           8
        .value_kind:     global_buffer
      - .actual_access:  read_only
        .address_space:  global
        .offset:         16
        .size:           8
        .value_kind:     global_buffer
      - .address_space:  global
        .offset:         24
        .size:           8
        .value_kind:     global_buffer
      - .offset:         32
        .size:           4
        .value_kind:     by_value
      - .offset:         36
        .size:           4
        .value_kind:     by_value
      - .offset:         40
        .size:           4
        .value_kind:     hidden_block_count_x
      - .offset:         44
        .size:           4
        .value_kind:     hidden_block_count_y
      - .offset:         48
        .size:           4
        .value_kind:     hidden_block_count_z
      - .offset:         52
        .size:           2
        .value_kind:     hidden_group_size_x
      - .offset:         54
        .size:           2
        .value_kind:     hidden_group_size_y
      - .offset:         56
        .size:           2
        .value_kind:     hidden_group_size_z
      - .offset:         58
        .size:           2
        .value_kind:     hidden_remainder_x
      - .offset:         60
        .size:           2
        .value_kind:     hidden_remainder_y
      - .offset:         62
        .size:           2
        .value_kind:     hidden_remainder_z
      - .offset:         80
        .size:           8
        .value_kind:     hidden_global_offset_x
      - .offset:         88
        .size:           8
        .value_kind:     hidden_global_offset_y
      - .offset:         96
        .size:           8
        .value_kind:     hidden_global_offset_z
      - .offset:         104
        .size:           2
        .value_kind:     hidden_grid_dims
      - .offset:         120
        .size:           8
        .value_kind:     hidden_hostcall_buffer
    .group_segment_fixed_size: 0
    .kernarg_segment_align: 8
    .kernarg_segment_size: 296
    .language:       OpenCL C
    .language_version:
      - 2
      - 0
    .max_flat_workgroup_size: 1024
    .name:           _Z12wvSplitK_hf_I14__hip_bfloat16Li64ELi2ELi16ELi8ELi2ELi2EEviiPKT_S3_PS1_ii
    .private_segment_fixed_size: 64
    .sgpr_count:     36
    .sgpr_spill_count: 0
    .symbol:         _Z12wvSplitK_hf_I14__hip_bfloat16Li64ELi2ELi16ELi8ELi2ELi2EEviiPKT_S3_PS1_ii.kd
    .uniform_work_group_size: 1
    .uses_dynamic_stack: false
    .vgpr_count:     41
    .vgpr_spill_count: 0
    .wavefront_size: 32
    .workgroup_processor_mode: 1
  - .args:
      - .offset:         0
        .size:           4
        .value_kind:     by_value
      - .offset:         4
        .size:           4
        .value_kind:     by_value
      - .address_space:  global
        .offset:         8
        .size:           8
        .value_kind:     global_buffer
      - .actual_access:  read_only
        .address_space:  global
        .offset:         16
        .size:           8
        .value_kind:     global_buffer
      - .address_space:  global
        .offset:         24
        .size:           8
        .value_kind:     global_buffer
      - .offset:         32
        .size:           4
        .value_kind:     by_value
      - .offset:         36
        .size:           4
        .value_kind:     by_value
      - .offset:         40
        .size:           4
        .value_kind:     hidden_block_count_x
      - .offset:         44
        .size:           4
        .value_kind:     hidden_block_count_y
      - .offset:         48
        .size:           4
        .value_kind:     hidden_block_count_z
      - .offset:         52
        .size:           2
        .value_kind:     hidden_group_size_x
      - .offset:         54
        .size:           2
        .value_kind:     hidden_group_size_y
      - .offset:         56
        .size:           2
        .value_kind:     hidden_group_size_z
      - .offset:         58
        .size:           2
        .value_kind:     hidden_remainder_x
      - .offset:         60
        .size:           2
        .value_kind:     hidden_remainder_y
      - .offset:         62
        .size:           2
        .value_kind:     hidden_remainder_z
      - .offset:         80
        .size:           8
        .value_kind:     hidden_global_offset_x
      - .offset:         88
        .size:           8
        .value_kind:     hidden_global_offset_y
      - .offset:         96
        .size:           8
        .value_kind:     hidden_global_offset_z
      - .offset:         104
        .size:           2
        .value_kind:     hidden_grid_dims
      - .offset:         120
        .size:           8
        .value_kind:     hidden_hostcall_buffer
    .group_segment_fixed_size: 0
    .kernarg_segment_align: 8
    .kernarg_segment_size: 296
    .language:       OpenCL C
    .language_version:
      - 2
      - 0
    .max_flat_workgroup_size: 1024
    .name:           _Z16wvSplitK_hf_big_I14__hip_bfloat16Li64ELi2ELi16ELi8ELi2ELi2EEviiPKT_S3_PS1_ii
    .private_segment_fixed_size: 64
    .sgpr_count:     36
    .sgpr_spill_count: 0
    .symbol:         _Z16wvSplitK_hf_big_I14__hip_bfloat16Li64ELi2ELi16ELi8ELi2ELi2EEviiPKT_S3_PS1_ii.kd
    .uniform_work_group_size: 1
    .uses_dynamic_stack: false
    .vgpr_count:     41
    .vgpr_spill_count: 0
    .wavefront_size: 32
    .workgroup_processor_mode: 1
  - .args:
      - .offset:         0
        .size:           4
        .value_kind:     by_value
      - .offset:         4
        .size:           4
        .value_kind:     by_value
      - .address_space:  global
        .offset:         8
        .size:           8
        .value_kind:     global_buffer
      - .actual_access:  read_only
        .address_space:  global
        .offset:         16
        .size:           8
        .value_kind:     global_buffer
      - .address_space:  global
        .offset:         24
        .size:           8
        .value_kind:     global_buffer
      - .offset:         32
        .size:           4
        .value_kind:     by_value
      - .offset:         36
        .size:           4
        .value_kind:     by_value
      - .offset:         40
        .size:           4
        .value_kind:     hidden_block_count_x
      - .offset:         44
        .size:           4
        .value_kind:     hidden_block_count_y
      - .offset:         48
        .size:           4
        .value_kind:     hidden_block_count_z
      - .offset:         52
        .size:           2
        .value_kind:     hidden_group_size_x
      - .offset:         54
        .size:           2
        .value_kind:     hidden_group_size_y
      - .offset:         56
        .size:           2
        .value_kind:     hidden_group_size_z
      - .offset:         58
        .size:           2
        .value_kind:     hidden_remainder_x
      - .offset:         60
        .size:           2
        .value_kind:     hidden_remainder_y
      - .offset:         62
        .size:           2
        .value_kind:     hidden_remainder_z
      - .offset:         80
        .size:           8
        .value_kind:     hidden_global_offset_x
      - .offset:         88
        .size:           8
        .value_kind:     hidden_global_offset_y
      - .offset:         96
        .size:           8
        .value_kind:     hidden_global_offset_z
      - .offset:         104
        .size:           2
        .value_kind:     hidden_grid_dims
      - .offset:         120
        .size:           8
        .value_kind:     hidden_hostcall_buffer
    .group_segment_fixed_size: 0
    .kernarg_segment_align: 8
    .kernarg_segment_size: 296
    .language:       OpenCL C
    .language_version:
      - 2
      - 0
    .max_flat_workgroup_size: 1024
    .name:           _Z16wvSplitK_hf_sml_I14__hip_bfloat16Li64ELi4ELi16ELi8ELi1ELi3EEviiPKT_S3_PS1_ii
    .private_segment_fixed_size: 64
    .sgpr_count:     36
    .sgpr_spill_count: 0
    .symbol:         _Z16wvSplitK_hf_sml_I14__hip_bfloat16Li64ELi4ELi16ELi8ELi1ELi3EEviiPKT_S3_PS1_ii.kd
    .uniform_work_group_size: 1
    .uses_dynamic_stack: false
    .vgpr_count:     41
    .vgpr_spill_count: 0
    .wavefront_size: 32
    .workgroup_processor_mode: 1
  - .args:
      - .offset:         0
        .size:           4
        .value_kind:     by_value
      - .offset:         4
        .size:           4
        .value_kind:     by_value
      - .address_space:  global
        .offset:         8
        .size:           8
        .value_kind:     global_buffer
      - .actual_access:  read_only
        .address_space:  global
        .offset:         16
        .size:           8
        .value_kind:     global_buffer
      - .address_space:  global
        .offset:         24
        .size:           8
        .value_kind:     global_buffer
      - .offset:         32
        .size:           4
        .value_kind:     by_value
      - .offset:         36
        .size:           4
        .value_kind:     by_value
      - .offset:         40
        .size:           4
        .value_kind:     hidden_block_count_x
      - .offset:         44
        .size:           4
        .value_kind:     hidden_block_count_y
      - .offset:         48
        .size:           4
        .value_kind:     hidden_block_count_z
      - .offset:         52
        .size:           2
        .value_kind:     hidden_group_size_x
      - .offset:         54
        .size:           2
        .value_kind:     hidden_group_size_y
      - .offset:         56
        .size:           2
        .value_kind:     hidden_group_size_z
      - .offset:         58
        .size:           2
        .value_kind:     hidden_remainder_x
      - .offset:         60
        .size:           2
        .value_kind:     hidden_remainder_y
      - .offset:         62
        .size:           2
        .value_kind:     hidden_remainder_z
      - .offset:         80
        .size:           8
        .value_kind:     hidden_global_offset_x
      - .offset:         88
        .size:           8
        .value_kind:     hidden_global_offset_y
      - .offset:         96
        .size:           8
        .value_kind:     hidden_global_offset_z
      - .offset:         104
        .size:           2
        .value_kind:     hidden_grid_dims
      - .offset:         120
        .size:           8
        .value_kind:     hidden_hostcall_buffer
    .group_segment_fixed_size: 0
    .kernarg_segment_align: 8
    .kernarg_segment_size: 296
    .language:       OpenCL C
    .language_version:
      - 2
      - 0
    .max_flat_workgroup_size: 1024
    .name:           _Z12wvSplitK_hf_I14__hip_bfloat16Li64ELi7ELi16ELi8ELi1ELi3EEviiPKT_S3_PS1_ii
    .private_segment_fixed_size: 64
    .sgpr_count:     36
    .sgpr_spill_count: 0
    .symbol:         _Z12wvSplitK_hf_I14__hip_bfloat16Li64ELi7ELi16ELi8ELi1ELi3EEviiPKT_S3_PS1_ii.kd
    .uniform_work_group_size: 1
    .uses_dynamic_stack: false
    .vgpr_count:     41
    .vgpr_spill_count: 0
    .wavefront_size: 32
    .workgroup_processor_mode: 1
  - .args:
      - .offset:         0
        .size:           4
        .value_kind:     by_value
      - .offset:         4
        .size:           4
        .value_kind:     by_value
      - .address_space:  global
        .offset:         8
        .size:           8
        .value_kind:     global_buffer
      - .actual_access:  read_only
        .address_space:  global
        .offset:         16
        .size:           8
        .value_kind:     global_buffer
      - .address_space:  global
        .offset:         24
        .size:           8
        .value_kind:     global_buffer
      - .offset:         32
        .size:           4
        .value_kind:     by_value
      - .offset:         36
        .size:           4
        .value_kind:     by_value
      - .offset:         40
        .size:           4
        .value_kind:     hidden_block_count_x
      - .offset:         44
        .size:           4
        .value_kind:     hidden_block_count_y
      - .offset:         48
        .size:           4
        .value_kind:     hidden_block_count_z
      - .offset:         52
        .size:           2
        .value_kind:     hidden_group_size_x
      - .offset:         54
        .size:           2
        .value_kind:     hidden_group_size_y
      - .offset:         56
        .size:           2
        .value_kind:     hidden_group_size_z
      - .offset:         58
        .size:           2
        .value_kind:     hidden_remainder_x
      - .offset:         60
        .size:           2
        .value_kind:     hidden_remainder_y
      - .offset:         62
        .size:           2
        .value_kind:     hidden_remainder_z
      - .offset:         80
        .size:           8
        .value_kind:     hidden_global_offset_x
      - .offset:         88
        .size:           8
        .value_kind:     hidden_global_offset_y
      - .offset:         96
        .size:           8
        .value_kind:     hidden_global_offset_z
      - .offset:         104
        .size:           2
        .value_kind:     hidden_grid_dims
      - .offset:         120
        .size:           8
        .value_kind:     hidden_hostcall_buffer
    .group_segment_fixed_size: 0
    .kernarg_segment_align: 8
    .kernarg_segment_size: 296
    .language:       OpenCL C
    .language_version:
      - 2
      - 0
    .max_flat_workgroup_size: 1024
    .name:           _Z16wvSplitK_hf_big_I14__hip_bfloat16Li64ELi7ELi16ELi8ELi1ELi3EEviiPKT_S3_PS1_ii
    .private_segment_fixed_size: 64
    .sgpr_count:     36
    .sgpr_spill_count: 0
    .symbol:         _Z16wvSplitK_hf_big_I14__hip_bfloat16Li64ELi7ELi16ELi8ELi1ELi3EEviiPKT_S3_PS1_ii.kd
    .uniform_work_group_size: 1
    .uses_dynamic_stack: false
    .vgpr_count:     41
    .vgpr_spill_count: 0
    .wavefront_size: 32
    .workgroup_processor_mode: 1
  - .args:
      - .offset:         0
        .size:           4
        .value_kind:     by_value
      - .offset:         4
        .size:           4
        .value_kind:     by_value
      - .address_space:  global
        .offset:         8
        .size:           8
        .value_kind:     global_buffer
      - .actual_access:  read_only
        .address_space:  global
        .offset:         16
        .size:           8
        .value_kind:     global_buffer
      - .address_space:  global
        .offset:         24
        .size:           8
        .value_kind:     global_buffer
      - .offset:         32
        .size:           4
        .value_kind:     by_value
      - .offset:         36
        .size:           4
        .value_kind:     by_value
      - .offset:         40
        .size:           4
        .value_kind:     hidden_block_count_x
      - .offset:         44
        .size:           4
        .value_kind:     hidden_block_count_y
      - .offset:         48
        .size:           4
        .value_kind:     hidden_block_count_z
      - .offset:         52
        .size:           2
        .value_kind:     hidden_group_size_x
      - .offset:         54
        .size:           2
        .value_kind:     hidden_group_size_y
      - .offset:         56
        .size:           2
        .value_kind:     hidden_group_size_z
      - .offset:         58
        .size:           2
        .value_kind:     hidden_remainder_x
      - .offset:         60
        .size:           2
        .value_kind:     hidden_remainder_y
      - .offset:         62
        .size:           2
        .value_kind:     hidden_remainder_z
      - .offset:         80
        .size:           8
        .value_kind:     hidden_global_offset_x
      - .offset:         88
        .size:           8
        .value_kind:     hidden_global_offset_y
      - .offset:         96
        .size:           8
        .value_kind:     hidden_global_offset_z
      - .offset:         104
        .size:           2
        .value_kind:     hidden_grid_dims
      - .offset:         120
        .size:           8
        .value_kind:     hidden_hostcall_buffer
    .group_segment_fixed_size: 0
    .kernarg_segment_align: 8
    .kernarg_segment_size: 296
    .language:       OpenCL C
    .language_version:
      - 2
      - 0
    .max_flat_workgroup_size: 1024
    .name:           _Z16wvSplitK_hf_sml_I14__hip_bfloat16Li64ELi4ELi16ELi8ELi1ELi4EEviiPKT_S3_PS1_ii
    .private_segment_fixed_size: 64
    .sgpr_count:     36
    .sgpr_spill_count: 0
    .symbol:         _Z16wvSplitK_hf_sml_I14__hip_bfloat16Li64ELi4ELi16ELi8ELi1ELi4EEviiPKT_S3_PS1_ii.kd
    .uniform_work_group_size: 1
    .uses_dynamic_stack: false
    .vgpr_count:     41
    .vgpr_spill_count: 0
    .wavefront_size: 32
    .workgroup_processor_mode: 1
  - .args:
      - .offset:         0
        .size:           4
        .value_kind:     by_value
      - .offset:         4
        .size:           4
        .value_kind:     by_value
      - .address_space:  global
        .offset:         8
        .size:           8
        .value_kind:     global_buffer
      - .actual_access:  read_only
        .address_space:  global
        .offset:         16
        .size:           8
        .value_kind:     global_buffer
      - .address_space:  global
        .offset:         24
        .size:           8
        .value_kind:     global_buffer
      - .offset:         32
        .size:           4
        .value_kind:     by_value
      - .offset:         36
        .size:           4
        .value_kind:     by_value
      - .offset:         40
        .size:           4
        .value_kind:     hidden_block_count_x
      - .offset:         44
        .size:           4
        .value_kind:     hidden_block_count_y
      - .offset:         48
        .size:           4
        .value_kind:     hidden_block_count_z
      - .offset:         52
        .size:           2
        .value_kind:     hidden_group_size_x
      - .offset:         54
        .size:           2
        .value_kind:     hidden_group_size_y
      - .offset:         56
        .size:           2
        .value_kind:     hidden_group_size_z
      - .offset:         58
        .size:           2
        .value_kind:     hidden_remainder_x
      - .offset:         60
        .size:           2
        .value_kind:     hidden_remainder_y
      - .offset:         62
        .size:           2
        .value_kind:     hidden_remainder_z
      - .offset:         80
        .size:           8
        .value_kind:     hidden_global_offset_x
      - .offset:         88
        .size:           8
        .value_kind:     hidden_global_offset_y
      - .offset:         96
        .size:           8
        .value_kind:     hidden_global_offset_z
      - .offset:         104
        .size:           2
        .value_kind:     hidden_grid_dims
      - .offset:         120
        .size:           8
        .value_kind:     hidden_hostcall_buffer
    .group_segment_fixed_size: 0
    .kernarg_segment_align: 8
    .kernarg_segment_size: 296
    .language:       OpenCL C
    .language_version:
      - 2
      - 0
    .max_flat_workgroup_size: 1024
    .name:           _Z12wvSplitK_hf_I14__hip_bfloat16Li64ELi7ELi16ELi8ELi1ELi4EEviiPKT_S3_PS1_ii
    .private_segment_fixed_size: 64
    .sgpr_count:     36
    .sgpr_spill_count: 0
    .symbol:         _Z12wvSplitK_hf_I14__hip_bfloat16Li64ELi7ELi16ELi8ELi1ELi4EEviiPKT_S3_PS1_ii.kd
    .uniform_work_group_size: 1
    .uses_dynamic_stack: false
    .vgpr_count:     41
    .vgpr_spill_count: 0
    .wavefront_size: 32
    .workgroup_processor_mode: 1
  - .args:
      - .offset:         0
        .size:           4
        .value_kind:     by_value
      - .offset:         4
        .size:           4
        .value_kind:     by_value
      - .address_space:  global
        .offset:         8
        .size:           8
        .value_kind:     global_buffer
      - .actual_access:  read_only
        .address_space:  global
        .offset:         16
        .size:           8
        .value_kind:     global_buffer
      - .address_space:  global
        .offset:         24
        .size:           8
        .value_kind:     global_buffer
      - .offset:         32
        .size:           4
        .value_kind:     by_value
      - .offset:         36
        .size:           4
        .value_kind:     by_value
      - .offset:         40
        .size:           4
        .value_kind:     hidden_block_count_x
      - .offset:         44
        .size:           4
        .value_kind:     hidden_block_count_y
      - .offset:         48
        .size:           4
        .value_kind:     hidden_block_count_z
      - .offset:         52
        .size:           2
        .value_kind:     hidden_group_size_x
      - .offset:         54
        .size:           2
        .value_kind:     hidden_group_size_y
      - .offset:         56
        .size:           2
        .value_kind:     hidden_group_size_z
      - .offset:         58
        .size:           2
        .value_kind:     hidden_remainder_x
      - .offset:         60
        .size:           2
        .value_kind:     hidden_remainder_y
      - .offset:         62
        .size:           2
        .value_kind:     hidden_remainder_z
      - .offset:         80
        .size:           8
        .value_kind:     hidden_global_offset_x
      - .offset:         88
        .size:           8
        .value_kind:     hidden_global_offset_y
      - .offset:         96
        .size:           8
        .value_kind:     hidden_global_offset_z
      - .offset:         104
        .size:           2
        .value_kind:     hidden_grid_dims
      - .offset:         120
        .size:           8
        .value_kind:     hidden_hostcall_buffer
    .group_segment_fixed_size: 0
    .kernarg_segment_align: 8
    .kernarg_segment_size: 296
    .language:       OpenCL C
    .language_version:
      - 2
      - 0
    .max_flat_workgroup_size: 1024
    .name:           _Z16wvSplitK_hf_big_I14__hip_bfloat16Li64ELi7ELi16ELi8ELi1ELi4EEviiPKT_S3_PS1_ii
    .private_segment_fixed_size: 64
    .sgpr_count:     36
    .sgpr_spill_count: 0
    .symbol:         _Z16wvSplitK_hf_big_I14__hip_bfloat16Li64ELi7ELi16ELi8ELi1ELi4EEviiPKT_S3_PS1_ii.kd
    .uniform_work_group_size: 1
    .uses_dynamic_stack: false
    .vgpr_count:     41
    .vgpr_spill_count: 0
    .wavefront_size: 32
    .workgroup_processor_mode: 1
  - .args:
      - .offset:         0
        .size:           4
        .value_kind:     by_value
      - .offset:         4
        .size:           4
        .value_kind:     by_value
      - .offset:         8
        .size:           4
        .value_kind:     by_value
      - .address_space:  global
        .offset:         16
        .size:           8
        .value_kind:     global_buffer
      - .actual_access:  read_only
        .address_space:  global
        .offset:         24
        .size:           8
        .value_kind:     global_buffer
      - .address_space:  global
        .offset:         32
        .size:           8
        .value_kind:     global_buffer
      - .actual_access:  read_only
        .address_space:  global
        .offset:         40
        .size:           8
        .value_kind:     global_buffer
      - .actual_access:  read_only
        .address_space:  global
        .offset:         48
        .size:           8
        .value_kind:     global_buffer
      - .offset:         56
        .size:           4
        .value_kind:     by_value
      - .offset:         60
        .size:           4
        .value_kind:     by_value
      - .offset:         64
        .size:           4
        .value_kind:     hidden_block_count_x
      - .offset:         68
        .size:           4
        .value_kind:     hidden_block_count_y
      - .offset:         72
        .size:           4
        .value_kind:     hidden_block_count_z
      - .offset:         76
        .size:           2
        .value_kind:     hidden_group_size_x
      - .offset:         78
        .size:           2
        .value_kind:     hidden_group_size_y
      - .offset:         80
        .size:           2
        .value_kind:     hidden_group_size_z
      - .offset:         82
        .size:           2
        .value_kind:     hidden_remainder_x
      - .offset:         84
        .size:           2
        .value_kind:     hidden_remainder_y
      - .offset:         86
        .size:           2
        .value_kind:     hidden_remainder_z
      - .offset:         104
        .size:           8
        .value_kind:     hidden_global_offset_x
      - .offset:         112
        .size:           8
        .value_kind:     hidden_global_offset_y
      - .offset:         120
        .size:           8
        .value_kind:     hidden_global_offset_z
      - .offset:         128
        .size:           2
        .value_kind:     hidden_grid_dims
      - .offset:         144
        .size:           8
        .value_kind:     hidden_hostcall_buffer
    .group_segment_fixed_size: 0
    .kernarg_segment_align: 8
    .kernarg_segment_size: 320
    .language:       OpenCL C
    .language_version:
      - 2
      - 0
    .max_flat_workgroup_size: 1024
    .name:           _Z17wvSplitKQ_hf_sml_I6__halfN3c1013Float8_e4m3fnELi64ELi2ELi16ELi16ELi2ELi1EEviiiPKT0_S5_PT_PKfS9_ii
    .private_segment_fixed_size: 64
    .sgpr_count:     36
    .sgpr_spill_count: 0
    .symbol:         _Z17wvSplitKQ_hf_sml_I6__halfN3c1013Float8_e4m3fnELi64ELi2ELi16ELi16ELi2ELi1EEviiiPKT0_S5_PT_PKfS9_ii.kd
    .uniform_work_group_size: 1
    .uses_dynamic_stack: false
    .vgpr_count:     41
    .vgpr_spill_count: 0
    .wavefront_size: 32
    .workgroup_processor_mode: 1
  - .args:
      - .offset:         0
        .size:           4
        .value_kind:     by_value
      - .offset:         4
        .size:           4
        .value_kind:     by_value
      - .offset:         8
        .size:           4
        .value_kind:     by_value
      - .address_space:  global
        .offset:         16
        .size:           8
        .value_kind:     global_buffer
      - .actual_access:  read_only
        .address_space:  global
        .offset:         24
        .size:           8
        .value_kind:     global_buffer
      - .address_space:  global
        .offset:         32
        .size:           8
        .value_kind:     global_buffer
      - .actual_access:  read_only
        .address_space:  global
        .offset:         40
        .size:           8
        .value_kind:     global_buffer
      - .actual_access:  read_only
        .address_space:  global
        .offset:         48
        .size:           8
        .value_kind:     global_buffer
      - .offset:         56
        .size:           4
        .value_kind:     by_value
      - .offset:         60
        .size:           4
        .value_kind:     by_value
      - .offset:         64
        .size:           4
        .value_kind:     hidden_block_count_x
      - .offset:         68
        .size:           4
        .value_kind:     hidden_block_count_y
      - .offset:         72
        .size:           4
        .value_kind:     hidden_block_count_z
      - .offset:         76
        .size:           2
        .value_kind:     hidden_group_size_x
      - .offset:         78
        .size:           2
        .value_kind:     hidden_group_size_y
      - .offset:         80
        .size:           2
        .value_kind:     hidden_group_size_z
      - .offset:         82
        .size:           2
        .value_kind:     hidden_remainder_x
      - .offset:         84
        .size:           2
        .value_kind:     hidden_remainder_y
      - .offset:         86
        .size:           2
        .value_kind:     hidden_remainder_z
      - .offset:         104
        .size:           8
        .value_kind:     hidden_global_offset_x
      - .offset:         112
        .size:           8
        .value_kind:     hidden_global_offset_y
      - .offset:         120
        .size:           8
        .value_kind:     hidden_global_offset_z
      - .offset:         128
        .size:           2
        .value_kind:     hidden_grid_dims
      - .offset:         144
        .size:           8
        .value_kind:     hidden_hostcall_buffer
    .group_segment_fixed_size: 0
    .kernarg_segment_align: 8
    .kernarg_segment_size: 320
    .language:       OpenCL C
    .language_version:
      - 2
      - 0
    .max_flat_workgroup_size: 1024
    .name:           _Z13wvSplitKQ_hf_I6__halfN3c1013Float8_e4m3fnELi64ELi2ELi16ELi16ELi2ELi1EEviiiPKT0_S5_PT_PKfS9_ii
    .private_segment_fixed_size: 64
    .sgpr_count:     36
    .sgpr_spill_count: 0
    .symbol:         _Z13wvSplitKQ_hf_I6__halfN3c1013Float8_e4m3fnELi64ELi2ELi16ELi16ELi2ELi1EEviiiPKT0_S5_PT_PKfS9_ii.kd
    .uniform_work_group_size: 1
    .uses_dynamic_stack: false
    .vgpr_count:     41
    .vgpr_spill_count: 0
    .wavefront_size: 32
    .workgroup_processor_mode: 1
  - .args:
      - .offset:         0
        .size:           4
        .value_kind:     by_value
      - .offset:         4
        .size:           4
        .value_kind:     by_value
      - .offset:         8
        .size:           4
        .value_kind:     by_value
      - .address_space:  global
        .offset:         16
        .size:           8
        .value_kind:     global_buffer
      - .actual_access:  read_only
        .address_space:  global
        .offset:         24
        .size:           8
        .value_kind:     global_buffer
      - .address_space:  global
        .offset:         32
        .size:           8
        .value_kind:     global_buffer
      - .actual_access:  read_only
        .address_space:  global
        .offset:         40
        .size:           8
        .value_kind:     global_buffer
      - .actual_access:  read_only
        .address_space:  global
        .offset:         48
        .size:           8
        .value_kind:     global_buffer
      - .offset:         56
        .size:           4
        .value_kind:     by_value
      - .offset:         60
        .size:           4
        .value_kind:     by_value
      - .offset:         64
        .size:           4
        .value_kind:     hidden_block_count_x
      - .offset:         68
        .size:           4
        .value_kind:     hidden_block_count_y
      - .offset:         72
        .size:           4
        .value_kind:     hidden_block_count_z
      - .offset:         76
        .size:           2
        .value_kind:     hidden_group_size_x
      - .offset:         78
        .size:           2
        .value_kind:     hidden_group_size_y
      - .offset:         80
        .size:           2
        .value_kind:     hidden_group_size_z
      - .offset:         82
        .size:           2
        .value_kind:     hidden_remainder_x
      - .offset:         84
        .size:           2
        .value_kind:     hidden_remainder_y
      - .offset:         86
        .size:           2
        .value_kind:     hidden_remainder_z
      - .offset:         104
        .size:           8
        .value_kind:     hidden_global_offset_x
      - .offset:         112
        .size:           8
        .value_kind:     hidden_global_offset_y
      - .offset:         120
        .size:           8
        .value_kind:     hidden_global_offset_z
      - .offset:         128
        .size:           2
        .value_kind:     hidden_grid_dims
      - .offset:         144
        .size:           8
        .value_kind:     hidden_hostcall_buffer
    .group_segment_fixed_size: 0
    .kernarg_segment_align: 8
    .kernarg_segment_size: 320
    .language:       OpenCL C
    .language_version:
      - 2
      - 0
    .max_flat_workgroup_size: 1024
    .name:           _Z17wvSplitKQ_hf_sml_I6__halfN3c1013Float8_e4m3fnELi64ELi2ELi16ELi16ELi2ELi2EEviiiPKT0_S5_PT_PKfS9_ii
    .private_segment_fixed_size: 64
    .sgpr_count:     36
    .sgpr_spill_count: 0
    .symbol:         _Z17wvSplitKQ_hf_sml_I6__halfN3c1013Float8_e4m3fnELi64ELi2ELi16ELi16ELi2ELi2EEviiiPKT0_S5_PT_PKfS9_ii.kd
    .uniform_work_group_size: 1
    .uses_dynamic_stack: false
    .vgpr_count:     41
    .vgpr_spill_count: 0
    .wavefront_size: 32
    .workgroup_processor_mode: 1
  - .args:
      - .offset:         0
        .size:           4
        .value_kind:     by_value
      - .offset:         4
        .size:           4
        .value_kind:     by_value
      - .offset:         8
        .size:           4
        .value_kind:     by_value
      - .address_space:  global
        .offset:         16
        .size:           8
        .value_kind:     global_buffer
      - .actual_access:  read_only
        .address_space:  global
        .offset:         24
        .size:           8
        .value_kind:     global_buffer
      - .address_space:  global
        .offset:         32
        .size:           8
        .value_kind:     global_buffer
      - .actual_access:  read_only
        .address_space:  global
        .offset:         40
        .size:           8
        .value_kind:     global_buffer
      - .actual_access:  read_only
        .address_space:  global
        .offset:         48
        .size:           8
        .value_kind:     global_buffer
      - .offset:         56
        .size:           4
        .value_kind:     by_value
      - .offset:         60
        .size:           4
        .value_kind:     by_value
      - .offset:         64
        .size:           4
        .value_kind:     hidden_block_count_x
      - .offset:         68
        .size:           4
        .value_kind:     hidden_block_count_y
      - .offset:         72
        .size:           4
        .value_kind:     hidden_block_count_z
      - .offset:         76
        .size:           2
        .value_kind:     hidden_group_size_x
      - .offset:         78
        .size:           2
        .value_kind:     hidden_group_size_y
      - .offset:         80
        .size:           2
        .value_kind:     hidden_group_size_z
      - .offset:         82
        .size:           2
        .value_kind:     hidden_remainder_x
      - .offset:         84
        .size:           2
        .value_kind:     hidden_remainder_y
      - .offset:         86
        .size:           2
        .value_kind:     hidden_remainder_z
      - .offset:         104
        .size:           8
        .value_kind:     hidden_global_offset_x
      - .offset:         112
        .size:           8
        .value_kind:     hidden_global_offset_y
      - .offset:         120
        .size:           8
        .value_kind:     hidden_global_offset_z
      - .offset:         128
        .size:           2
        .value_kind:     hidden_grid_dims
      - .offset:         144
        .size:           8
        .value_kind:     hidden_hostcall_buffer
    .group_segment_fixed_size: 0
    .kernarg_segment_align: 8
    .kernarg_segment_size: 320
    .language:       OpenCL C
    .language_version:
      - 2
      - 0
    .max_flat_workgroup_size: 1024
    .name:           _Z13wvSplitKQ_hf_I6__halfN3c1013Float8_e4m3fnELi64ELi2ELi16ELi16ELi2ELi2EEviiiPKT0_S5_PT_PKfS9_ii
    .private_segment_fixed_size: 64
    .sgpr_count:     36
    .sgpr_spill_count: 0
    .symbol:         _Z13wvSplitKQ_hf_I6__halfN3c1013Float8_e4m3fnELi64ELi2ELi16ELi16ELi2ELi2EEviiiPKT0_S5_PT_PKfS9_ii.kd
    .uniform_work_group_size: 1
    .uses_dynamic_stack: false
    .vgpr_count:     41
    .vgpr_spill_count: 0
    .wavefront_size: 32
    .workgroup_processor_mode: 1
  - .args:
      - .offset:         0
        .size:           4
        .value_kind:     by_value
      - .offset:         4
        .size:           4
        .value_kind:     by_value
      - .offset:         8
        .size:           4
        .value_kind:     by_value
      - .address_space:  global
        .offset:         16
        .size:           8
        .value_kind:     global_buffer
      - .actual_access:  read_only
        .address_space:  global
        .offset:         24
        .size:           8
        .value_kind:     global_buffer
      - .address_space:  global
        .offset:         32
        .size:           8
        .value_kind:     global_buffer
      - .actual_access:  read_only
        .address_space:  global
        .offset:         40
        .size:           8
        .value_kind:     global_buffer
      - .actual_access:  read_only
        .address_space:  global
        .offset:         48
        .size:           8
        .value_kind:     global_buffer
      - .offset:         56
        .size:           4
        .value_kind:     by_value
      - .offset:         60
        .size:           4
        .value_kind:     by_value
      - .offset:         64
        .size:           4
        .value_kind:     hidden_block_count_x
      - .offset:         68
        .size:           4
        .value_kind:     hidden_block_count_y
      - .offset:         72
        .size:           4
        .value_kind:     hidden_block_count_z
      - .offset:         76
        .size:           2
        .value_kind:     hidden_group_size_x
      - .offset:         78
        .size:           2
        .value_kind:     hidden_group_size_y
      - .offset:         80
        .size:           2
        .value_kind:     hidden_group_size_z
      - .offset:         82
        .size:           2
        .value_kind:     hidden_remainder_x
      - .offset:         84
        .size:           2
        .value_kind:     hidden_remainder_y
      - .offset:         86
        .size:           2
        .value_kind:     hidden_remainder_z
      - .offset:         104
        .size:           8
        .value_kind:     hidden_global_offset_x
      - .offset:         112
        .size:           8
        .value_kind:     hidden_global_offset_y
      - .offset:         120
        .size:           8
        .value_kind:     hidden_global_offset_z
      - .offset:         128
        .size:           2
        .value_kind:     hidden_grid_dims
      - .offset:         144
        .size:           8
        .value_kind:     hidden_hostcall_buffer
    .group_segment_fixed_size: 0
    .kernarg_segment_align: 8
    .kernarg_segment_size: 320
    .language:       OpenCL C
    .language_version:
      - 2
      - 0
    .max_flat_workgroup_size: 1024
    .name:           _Z17wvSplitKQ_hf_sml_I6__halfN3c1013Float8_e4m3fnELi64ELi4ELi16ELi16ELi1ELi3EEviiiPKT0_S5_PT_PKfS9_ii
    .private_segment_fixed_size: 64
    .sgpr_count:     36
    .sgpr_spill_count: 0
    .symbol:         _Z17wvSplitKQ_hf_sml_I6__halfN3c1013Float8_e4m3fnELi64ELi4ELi16ELi16ELi1ELi3EEviiiPKT0_S5_PT_PKfS9_ii.kd
    .uniform_work_group_size: 1
    .uses_dynamic_stack: false
    .vgpr_count:     41
    .vgpr_spill_count: 0
    .wavefront_size: 32
    .workgroup_processor_mode: 1
  - .args:
      - .offset:         0
        .size:           4
        .value_kind:     by_value
      - .offset:         4
        .size:           4
        .value_kind:     by_value
      - .offset:         8
        .size:           4
        .value_kind:     by_value
      - .address_space:  global
        .offset:         16
        .size:           8
        .value_kind:     global_buffer
      - .actual_access:  read_only
        .address_space:  global
        .offset:         24
        .size:           8
        .value_kind:     global_buffer
      - .address_space:  global
        .offset:         32
        .size:           8
        .value_kind:     global_buffer
      - .actual_access:  read_only
        .address_space:  global
        .offset:         40
        .size:           8
        .value_kind:     global_buffer
      - .actual_access:  read_only
        .address_space:  global
        .offset:         48
        .size:           8
        .value_kind:     global_buffer
      - .offset:         56
        .size:           4
        .value_kind:     by_value
      - .offset:         60
        .size:           4
        .value_kind:     by_value
      - .offset:         64
        .size:           4
        .value_kind:     hidden_block_count_x
      - .offset:         68
        .size:           4
        .value_kind:     hidden_block_count_y
      - .offset:         72
        .size:           4
        .value_kind:     hidden_block_count_z
      - .offset:         76
        .size:           2
        .value_kind:     hidden_group_size_x
      - .offset:         78
        .size:           2
        .value_kind:     hidden_group_size_y
      - .offset:         80
        .size:           2
        .value_kind:     hidden_group_size_z
      - .offset:         82
        .size:           2
        .value_kind:     hidden_remainder_x
      - .offset:         84
        .size:           2
        .value_kind:     hidden_remainder_y
      - .offset:         86
        .size:           2
        .value_kind:     hidden_remainder_z
      - .offset:         104
        .size:           8
        .value_kind:     hidden_global_offset_x
      - .offset:         112
        .size:           8
        .value_kind:     hidden_global_offset_y
      - .offset:         120
        .size:           8
        .value_kind:     hidden_global_offset_z
      - .offset:         128
        .size:           2
        .value_kind:     hidden_grid_dims
      - .offset:         144
        .size:           8
        .value_kind:     hidden_hostcall_buffer
    .group_segment_fixed_size: 0
    .kernarg_segment_align: 8
    .kernarg_segment_size: 320
    .language:       OpenCL C
    .language_version:
      - 2
      - 0
    .max_flat_workgroup_size: 1024
    .name:           _Z13wvSplitKQ_hf_I6__halfN3c1013Float8_e4m3fnELi64ELi7ELi16ELi16ELi1ELi3EEviiiPKT0_S5_PT_PKfS9_ii
    .private_segment_fixed_size: 64
    .sgpr_count:     36
    .sgpr_spill_count: 0
    .symbol:         _Z13wvSplitKQ_hf_I6__halfN3c1013Float8_e4m3fnELi64ELi7ELi16ELi16ELi1ELi3EEviiiPKT0_S5_PT_PKfS9_ii.kd
    .uniform_work_group_size: 1
    .uses_dynamic_stack: false
    .vgpr_count:     41
    .vgpr_spill_count: 0
    .wavefront_size: 32
    .workgroup_processor_mode: 1
  - .args:
      - .offset:         0
        .size:           4
        .value_kind:     by_value
      - .offset:         4
        .size:           4
        .value_kind:     by_value
      - .offset:         8
        .size:           4
        .value_kind:     by_value
      - .address_space:  global
        .offset:         16
        .size:           8
        .value_kind:     global_buffer
      - .actual_access:  read_only
        .address_space:  global
        .offset:         24
        .size:           8
        .value_kind:     global_buffer
      - .address_space:  global
        .offset:         32
        .size:           8
        .value_kind:     global_buffer
      - .actual_access:  read_only
        .address_space:  global
        .offset:         40
        .size:           8
        .value_kind:     global_buffer
      - .actual_access:  read_only
        .address_space:  global
        .offset:         48
        .size:           8
        .value_kind:     global_buffer
      - .offset:         56
        .size:           4
        .value_kind:     by_value
      - .offset:         60
        .size:           4
        .value_kind:     by_value
      - .offset:         64
        .size:           4
        .value_kind:     hidden_block_count_x
      - .offset:         68
        .size:           4
        .value_kind:     hidden_block_count_y
      - .offset:         72
        .size:           4
        .value_kind:     hidden_block_count_z
      - .offset:         76
        .size:           2
        .value_kind:     hidden_group_size_x
      - .offset:         78
        .size:           2
        .value_kind:     hidden_group_size_y
      - .offset:         80
        .size:           2
        .value_kind:     hidden_group_size_z
      - .offset:         82
        .size:           2
        .value_kind:     hidden_remainder_x
      - .offset:         84
        .size:           2
        .value_kind:     hidden_remainder_y
      - .offset:         86
        .size:           2
        .value_kind:     hidden_remainder_z
      - .offset:         104
        .size:           8
        .value_kind:     hidden_global_offset_x
      - .offset:         112
        .size:           8
        .value_kind:     hidden_global_offset_y
      - .offset:         120
        .size:           8
        .value_kind:     hidden_global_offset_z
      - .offset:         128
        .size:           2
        .value_kind:     hidden_grid_dims
      - .offset:         144
        .size:           8
        .value_kind:     hidden_hostcall_buffer
    .group_segment_fixed_size: 0
    .kernarg_segment_align: 8
    .kernarg_segment_size: 320
    .language:       OpenCL C
    .language_version:
      - 2
      - 0
    .max_flat_workgroup_size: 1024
    .name:           _Z17wvSplitKQ_hf_sml_I6__halfN3c1013Float8_e4m3fnELi64ELi4ELi16ELi16ELi1ELi4EEviiiPKT0_S5_PT_PKfS9_ii
    .private_segment_fixed_size: 64
    .sgpr_count:     36
    .sgpr_spill_count: 0
    .symbol:         _Z17wvSplitKQ_hf_sml_I6__halfN3c1013Float8_e4m3fnELi64ELi4ELi16ELi16ELi1ELi4EEviiiPKT0_S5_PT_PKfS9_ii.kd
    .uniform_work_group_size: 1
    .uses_dynamic_stack: false
    .vgpr_count:     41
    .vgpr_spill_count: 0
    .wavefront_size: 32
    .workgroup_processor_mode: 1
  - .args:
      - .offset:         0
        .size:           4
        .value_kind:     by_value
      - .offset:         4
        .size:           4
        .value_kind:     by_value
      - .offset:         8
        .size:           4
        .value_kind:     by_value
      - .address_space:  global
        .offset:         16
        .size:           8
        .value_kind:     global_buffer
      - .actual_access:  read_only
        .address_space:  global
        .offset:         24
        .size:           8
        .value_kind:     global_buffer
      - .address_space:  global
        .offset:         32
        .size:           8
        .value_kind:     global_buffer
      - .actual_access:  read_only
        .address_space:  global
        .offset:         40
        .size:           8
        .value_kind:     global_buffer
      - .actual_access:  read_only
        .address_space:  global
        .offset:         48
        .size:           8
        .value_kind:     global_buffer
      - .offset:         56
        .size:           4
        .value_kind:     by_value
      - .offset:         60
        .size:           4
        .value_kind:     by_value
      - .offset:         64
        .size:           4
        .value_kind:     hidden_block_count_x
      - .offset:         68
        .size:           4
        .value_kind:     hidden_block_count_y
      - .offset:         72
        .size:           4
        .value_kind:     hidden_block_count_z
      - .offset:         76
        .size:           2
        .value_kind:     hidden_group_size_x
      - .offset:         78
        .size:           2
        .value_kind:     hidden_group_size_y
      - .offset:         80
        .size:           2
        .value_kind:     hidden_group_size_z
      - .offset:         82
        .size:           2
        .value_kind:     hidden_remainder_x
      - .offset:         84
        .size:           2
        .value_kind:     hidden_remainder_y
      - .offset:         86
        .size:           2
        .value_kind:     hidden_remainder_z
      - .offset:         104
        .size:           8
        .value_kind:     hidden_global_offset_x
      - .offset:         112
        .size:           8
        .value_kind:     hidden_global_offset_y
      - .offset:         120
        .size:           8
        .value_kind:     hidden_global_offset_z
      - .offset:         128
        .size:           2
        .value_kind:     hidden_grid_dims
      - .offset:         144
        .size:           8
        .value_kind:     hidden_hostcall_buffer
    .group_segment_fixed_size: 0
    .kernarg_segment_align: 8
    .kernarg_segment_size: 320
    .language:       OpenCL C
    .language_version:
      - 2
      - 0
    .max_flat_workgroup_size: 1024
    .name:           _Z13wvSplitKQ_hf_I6__halfN3c1013Float8_e4m3fnELi64ELi7ELi16ELi16ELi1ELi4EEviiiPKT0_S5_PT_PKfS9_ii
    .private_segment_fixed_size: 64
    .sgpr_count:     36
    .sgpr_spill_count: 0
    .symbol:         _Z13wvSplitKQ_hf_I6__halfN3c1013Float8_e4m3fnELi64ELi7ELi16ELi16ELi1ELi4EEviiiPKT0_S5_PT_PKfS9_ii.kd
    .uniform_work_group_size: 1
    .uses_dynamic_stack: false
    .vgpr_count:     41
    .vgpr_spill_count: 0
    .wavefront_size: 32
    .workgroup_processor_mode: 1
  - .args:
      - .offset:         0
        .size:           4
        .value_kind:     by_value
      - .offset:         4
        .size:           4
        .value_kind:     by_value
      - .offset:         8
        .size:           4
        .value_kind:     by_value
      - .address_space:  global
        .offset:         16
        .size:           8
        .value_kind:     global_buffer
      - .actual_access:  read_only
        .address_space:  global
        .offset:         24
        .size:           8
        .value_kind:     global_buffer
      - .address_space:  global
        .offset:         32
        .size:           8
        .value_kind:     global_buffer
      - .actual_access:  read_only
        .address_space:  global
        .offset:         40
        .size:           8
        .value_kind:     global_buffer
      - .actual_access:  read_only
        .address_space:  global
        .offset:         48
        .size:           8
        .value_kind:     global_buffer
      - .offset:         56
        .size:           4
        .value_kind:     by_value
      - .offset:         60
        .size:           4
        .value_kind:     by_value
      - .offset:         64
        .size:           4
        .value_kind:     hidden_block_count_x
      - .offset:         68
        .size:           4
        .value_kind:     hidden_block_count_y
      - .offset:         72
        .size:           4
        .value_kind:     hidden_block_count_z
      - .offset:         76
        .size:           2
        .value_kind:     hidden_group_size_x
      - .offset:         78
        .size:           2
        .value_kind:     hidden_group_size_y
      - .offset:         80
        .size:           2
        .value_kind:     hidden_group_size_z
      - .offset:         82
        .size:           2
        .value_kind:     hidden_remainder_x
      - .offset:         84
        .size:           2
        .value_kind:     hidden_remainder_y
      - .offset:         86
        .size:           2
        .value_kind:     hidden_remainder_z
      - .offset:         104
        .size:           8
        .value_kind:     hidden_global_offset_x
      - .offset:         112
        .size:           8
        .value_kind:     hidden_global_offset_y
      - .offset:         120
        .size:           8
        .value_kind:     hidden_global_offset_z
      - .offset:         128
        .size:           2
        .value_kind:     hidden_grid_dims
      - .offset:         144
        .size:           8
        .value_kind:     hidden_hostcall_buffer
    .group_segment_fixed_size: 0
    .kernarg_segment_align: 8
    .kernarg_segment_size: 320
    .language:       OpenCL C
    .language_version:
      - 2
      - 0
    .max_flat_workgroup_size: 1024
    .name:           _Z17wvSplitKQ_hf_sml_I6__halfN3c1015Float8_e4m3fnuzELi64ELi2ELi16ELi16ELi2ELi1EEviiiPKT0_S5_PT_PKfS9_ii
    .private_segment_fixed_size: 64
    .sgpr_count:     36
    .sgpr_spill_count: 0
    .symbol:         _Z17wvSplitKQ_hf_sml_I6__halfN3c1015Float8_e4m3fnuzELi64ELi2ELi16ELi16ELi2ELi1EEviiiPKT0_S5_PT_PKfS9_ii.kd
    .uniform_work_group_size: 1
    .uses_dynamic_stack: false
    .vgpr_count:     41
    .vgpr_spill_count: 0
    .wavefront_size: 32
    .workgroup_processor_mode: 1
  - .args:
      - .offset:         0
        .size:           4
        .value_kind:     by_value
      - .offset:         4
        .size:           4
        .value_kind:     by_value
      - .offset:         8
        .size:           4
        .value_kind:     by_value
      - .address_space:  global
        .offset:         16
        .size:           8
        .value_kind:     global_buffer
      - .actual_access:  read_only
        .address_space:  global
        .offset:         24
        .size:           8
        .value_kind:     global_buffer
      - .address_space:  global
        .offset:         32
        .size:           8
        .value_kind:     global_buffer
      - .actual_access:  read_only
        .address_space:  global
        .offset:         40
        .size:           8
        .value_kind:     global_buffer
      - .actual_access:  read_only
        .address_space:  global
        .offset:         48
        .size:           8
        .value_kind:     global_buffer
      - .offset:         56
        .size:           4
        .value_kind:     by_value
      - .offset:         60
        .size:           4
        .value_kind:     by_value
      - .offset:         64
        .size:           4
        .value_kind:     hidden_block_count_x
      - .offset:         68
        .size:           4
        .value_kind:     hidden_block_count_y
      - .offset:         72
        .size:           4
        .value_kind:     hidden_block_count_z
      - .offset:         76
        .size:           2
        .value_kind:     hidden_group_size_x
      - .offset:         78
        .size:           2
        .value_kind:     hidden_group_size_y
      - .offset:         80
        .size:           2
        .value_kind:     hidden_group_size_z
      - .offset:         82
        .size:           2
        .value_kind:     hidden_remainder_x
      - .offset:         84
        .size:           2
        .value_kind:     hidden_remainder_y
      - .offset:         86
        .size:           2
        .value_kind:     hidden_remainder_z
      - .offset:         104
        .size:           8
        .value_kind:     hidden_global_offset_x
      - .offset:         112
        .size:           8
        .value_kind:     hidden_global_offset_y
      - .offset:         120
        .size:           8
        .value_kind:     hidden_global_offset_z
      - .offset:         128
        .size:           2
        .value_kind:     hidden_grid_dims
      - .offset:         144
        .size:           8
        .value_kind:     hidden_hostcall_buffer
    .group_segment_fixed_size: 0
    .kernarg_segment_align: 8
    .kernarg_segment_size: 320
    .language:       OpenCL C
    .language_version:
      - 2
      - 0
    .max_flat_workgroup_size: 1024
    .name:           _Z13wvSplitKQ_hf_I6__halfN3c1015Float8_e4m3fnuzELi64ELi2ELi16ELi16ELi2ELi1EEviiiPKT0_S5_PT_PKfS9_ii
    .private_segment_fixed_size: 64
    .sgpr_count:     36
    .sgpr_spill_count: 0
    .symbol:         _Z13wvSplitKQ_hf_I6__halfN3c1015Float8_e4m3fnuzELi64ELi2ELi16ELi16ELi2ELi1EEviiiPKT0_S5_PT_PKfS9_ii.kd
    .uniform_work_group_size: 1
    .uses_dynamic_stack: false
    .vgpr_count:     41
    .vgpr_spill_count: 0
    .wavefront_size: 32
    .workgroup_processor_mode: 1
  - .args:
      - .offset:         0
        .size:           4
        .value_kind:     by_value
      - .offset:         4
        .size:           4
        .value_kind:     by_value
      - .offset:         8
        .size:           4
        .value_kind:     by_value
      - .address_space:  global
        .offset:         16
        .size:           8
        .value_kind:     global_buffer
      - .actual_access:  read_only
        .address_space:  global
        .offset:         24
        .size:           8
        .value_kind:     global_buffer
      - .address_space:  global
        .offset:         32
        .size:           8
        .value_kind:     global_buffer
      - .actual_access:  read_only
        .address_space:  global
        .offset:         40
        .size:           8
        .value_kind:     global_buffer
      - .actual_access:  read_only
        .address_space:  global
        .offset:         48
        .size:           8
        .value_kind:     global_buffer
      - .offset:         56
        .size:           4
        .value_kind:     by_value
      - .offset:         60
        .size:           4
        .value_kind:     by_value
      - .offset:         64
        .size:           4
        .value_kind:     hidden_block_count_x
      - .offset:         68
        .size:           4
        .value_kind:     hidden_block_count_y
      - .offset:         72
        .size:           4
        .value_kind:     hidden_block_count_z
      - .offset:         76
        .size:           2
        .value_kind:     hidden_group_size_x
      - .offset:         78
        .size:           2
        .value_kind:     hidden_group_size_y
      - .offset:         80
        .size:           2
        .value_kind:     hidden_group_size_z
      - .offset:         82
        .size:           2
        .value_kind:     hidden_remainder_x
      - .offset:         84
        .size:           2
        .value_kind:     hidden_remainder_y
      - .offset:         86
        .size:           2
        .value_kind:     hidden_remainder_z
      - .offset:         104
        .size:           8
        .value_kind:     hidden_global_offset_x
      - .offset:         112
        .size:           8
        .value_kind:     hidden_global_offset_y
      - .offset:         120
        .size:           8
        .value_kind:     hidden_global_offset_z
      - .offset:         128
        .size:           2
        .value_kind:     hidden_grid_dims
      - .offset:         144
        .size:           8
        .value_kind:     hidden_hostcall_buffer
    .group_segment_fixed_size: 0
    .kernarg_segment_align: 8
    .kernarg_segment_size: 320
    .language:       OpenCL C
    .language_version:
      - 2
      - 0
    .max_flat_workgroup_size: 1024
    .name:           _Z17wvSplitKQ_hf_sml_I6__halfN3c1015Float8_e4m3fnuzELi64ELi2ELi16ELi16ELi2ELi2EEviiiPKT0_S5_PT_PKfS9_ii
    .private_segment_fixed_size: 64
    .sgpr_count:     36
    .sgpr_spill_count: 0
    .symbol:         _Z17wvSplitKQ_hf_sml_I6__halfN3c1015Float8_e4m3fnuzELi64ELi2ELi16ELi16ELi2ELi2EEviiiPKT0_S5_PT_PKfS9_ii.kd
    .uniform_work_group_size: 1
    .uses_dynamic_stack: false
    .vgpr_count:     41
    .vgpr_spill_count: 0
    .wavefront_size: 32
    .workgroup_processor_mode: 1
  - .args:
      - .offset:         0
        .size:           4
        .value_kind:     by_value
      - .offset:         4
        .size:           4
        .value_kind:     by_value
      - .offset:         8
        .size:           4
        .value_kind:     by_value
      - .address_space:  global
        .offset:         16
        .size:           8
        .value_kind:     global_buffer
      - .actual_access:  read_only
        .address_space:  global
        .offset:         24
        .size:           8
        .value_kind:     global_buffer
      - .address_space:  global
        .offset:         32
        .size:           8
        .value_kind:     global_buffer
      - .actual_access:  read_only
        .address_space:  global
        .offset:         40
        .size:           8
        .value_kind:     global_buffer
      - .actual_access:  read_only
        .address_space:  global
        .offset:         48
        .size:           8
        .value_kind:     global_buffer
      - .offset:         56
        .size:           4
        .value_kind:     by_value
      - .offset:         60
        .size:           4
        .value_kind:     by_value
      - .offset:         64
        .size:           4
        .value_kind:     hidden_block_count_x
      - .offset:         68
        .size:           4
        .value_kind:     hidden_block_count_y
      - .offset:         72
        .size:           4
        .value_kind:     hidden_block_count_z
      - .offset:         76
        .size:           2
        .value_kind:     hidden_group_size_x
      - .offset:         78
        .size:           2
        .value_kind:     hidden_group_size_y
      - .offset:         80
        .size:           2
        .value_kind:     hidden_group_size_z
      - .offset:         82
        .size:           2
        .value_kind:     hidden_remainder_x
      - .offset:         84
        .size:           2
        .value_kind:     hidden_remainder_y
      - .offset:         86
        .size:           2
        .value_kind:     hidden_remainder_z
      - .offset:         104
        .size:           8
        .value_kind:     hidden_global_offset_x
      - .offset:         112
        .size:           8
        .value_kind:     hidden_global_offset_y
      - .offset:         120
        .size:           8
        .value_kind:     hidden_global_offset_z
      - .offset:         128
        .size:           2
        .value_kind:     hidden_grid_dims
      - .offset:         144
        .size:           8
        .value_kind:     hidden_hostcall_buffer
    .group_segment_fixed_size: 0
    .kernarg_segment_align: 8
    .kernarg_segment_size: 320
    .language:       OpenCL C
    .language_version:
      - 2
      - 0
    .max_flat_workgroup_size: 1024
    .name:           _Z13wvSplitKQ_hf_I6__halfN3c1015Float8_e4m3fnuzELi64ELi2ELi16ELi16ELi2ELi2EEviiiPKT0_S5_PT_PKfS9_ii
    .private_segment_fixed_size: 64
    .sgpr_count:     36
    .sgpr_spill_count: 0
    .symbol:         _Z13wvSplitKQ_hf_I6__halfN3c1015Float8_e4m3fnuzELi64ELi2ELi16ELi16ELi2ELi2EEviiiPKT0_S5_PT_PKfS9_ii.kd
    .uniform_work_group_size: 1
    .uses_dynamic_stack: false
    .vgpr_count:     41
    .vgpr_spill_count: 0
    .wavefront_size: 32
    .workgroup_processor_mode: 1
  - .args:
      - .offset:         0
        .size:           4
        .value_kind:     by_value
      - .offset:         4
        .size:           4
        .value_kind:     by_value
      - .offset:         8
        .size:           4
        .value_kind:     by_value
      - .address_space:  global
        .offset:         16
        .size:           8
        .value_kind:     global_buffer
      - .actual_access:  read_only
        .address_space:  global
        .offset:         24
        .size:           8
        .value_kind:     global_buffer
      - .address_space:  global
        .offset:         32
        .size:           8
        .value_kind:     global_buffer
      - .actual_access:  read_only
        .address_space:  global
        .offset:         40
        .size:           8
        .value_kind:     global_buffer
      - .actual_access:  read_only
        .address_space:  global
        .offset:         48
        .size:           8
        .value_kind:     global_buffer
      - .offset:         56
        .size:           4
        .value_kind:     by_value
      - .offset:         60
        .size:           4
        .value_kind:     by_value
      - .offset:         64
        .size:           4
        .value_kind:     hidden_block_count_x
      - .offset:         68
        .size:           4
        .value_kind:     hidden_block_count_y
      - .offset:         72
        .size:           4
        .value_kind:     hidden_block_count_z
      - .offset:         76
        .size:           2
        .value_kind:     hidden_group_size_x
      - .offset:         78
        .size:           2
        .value_kind:     hidden_group_size_y
      - .offset:         80
        .size:           2
        .value_kind:     hidden_group_size_z
      - .offset:         82
        .size:           2
        .value_kind:     hidden_remainder_x
      - .offset:         84
        .size:           2
        .value_kind:     hidden_remainder_y
      - .offset:         86
        .size:           2
        .value_kind:     hidden_remainder_z
      - .offset:         104
        .size:           8
        .value_kind:     hidden_global_offset_x
      - .offset:         112
        .size:           8
        .value_kind:     hidden_global_offset_y
      - .offset:         120
        .size:           8
        .value_kind:     hidden_global_offset_z
      - .offset:         128
        .size:           2
        .value_kind:     hidden_grid_dims
      - .offset:         144
        .size:           8
        .value_kind:     hidden_hostcall_buffer
    .group_segment_fixed_size: 0
    .kernarg_segment_align: 8
    .kernarg_segment_size: 320
    .language:       OpenCL C
    .language_version:
      - 2
      - 0
    .max_flat_workgroup_size: 1024
    .name:           _Z17wvSplitKQ_hf_sml_I6__halfN3c1015Float8_e4m3fnuzELi64ELi4ELi16ELi16ELi1ELi3EEviiiPKT0_S5_PT_PKfS9_ii
    .private_segment_fixed_size: 64
    .sgpr_count:     36
    .sgpr_spill_count: 0
    .symbol:         _Z17wvSplitKQ_hf_sml_I6__halfN3c1015Float8_e4m3fnuzELi64ELi4ELi16ELi16ELi1ELi3EEviiiPKT0_S5_PT_PKfS9_ii.kd
    .uniform_work_group_size: 1
    .uses_dynamic_stack: false
    .vgpr_count:     41
    .vgpr_spill_count: 0
    .wavefront_size: 32
    .workgroup_processor_mode: 1
  - .args:
      - .offset:         0
        .size:           4
        .value_kind:     by_value
      - .offset:         4
        .size:           4
        .value_kind:     by_value
      - .offset:         8
        .size:           4
        .value_kind:     by_value
      - .address_space:  global
        .offset:         16
        .size:           8
        .value_kind:     global_buffer
      - .actual_access:  read_only
        .address_space:  global
        .offset:         24
        .size:           8
        .value_kind:     global_buffer
      - .address_space:  global
        .offset:         32
        .size:           8
        .value_kind:     global_buffer
      - .actual_access:  read_only
        .address_space:  global
        .offset:         40
        .size:           8
        .value_kind:     global_buffer
      - .actual_access:  read_only
        .address_space:  global
        .offset:         48
        .size:           8
        .value_kind:     global_buffer
      - .offset:         56
        .size:           4
        .value_kind:     by_value
      - .offset:         60
        .size:           4
        .value_kind:     by_value
      - .offset:         64
        .size:           4
        .value_kind:     hidden_block_count_x
      - .offset:         68
        .size:           4
        .value_kind:     hidden_block_count_y
      - .offset:         72
        .size:           4
        .value_kind:     hidden_block_count_z
      - .offset:         76
        .size:           2
        .value_kind:     hidden_group_size_x
      - .offset:         78
        .size:           2
        .value_kind:     hidden_group_size_y
      - .offset:         80
        .size:           2
        .value_kind:     hidden_group_size_z
      - .offset:         82
        .size:           2
        .value_kind:     hidden_remainder_x
      - .offset:         84
        .size:           2
        .value_kind:     hidden_remainder_y
      - .offset:         86
        .size:           2
        .value_kind:     hidden_remainder_z
      - .offset:         104
        .size:           8
        .value_kind:     hidden_global_offset_x
      - .offset:         112
        .size:           8
        .value_kind:     hidden_global_offset_y
      - .offset:         120
        .size:           8
        .value_kind:     hidden_global_offset_z
      - .offset:         128
        .size:           2
        .value_kind:     hidden_grid_dims
      - .offset:         144
        .size:           8
        .value_kind:     hidden_hostcall_buffer
    .group_segment_fixed_size: 0
    .kernarg_segment_align: 8
    .kernarg_segment_size: 320
    .language:       OpenCL C
    .language_version:
      - 2
      - 0
    .max_flat_workgroup_size: 1024
    .name:           _Z13wvSplitKQ_hf_I6__halfN3c1015Float8_e4m3fnuzELi64ELi7ELi16ELi16ELi1ELi3EEviiiPKT0_S5_PT_PKfS9_ii
    .private_segment_fixed_size: 64
    .sgpr_count:     36
    .sgpr_spill_count: 0
    .symbol:         _Z13wvSplitKQ_hf_I6__halfN3c1015Float8_e4m3fnuzELi64ELi7ELi16ELi16ELi1ELi3EEviiiPKT0_S5_PT_PKfS9_ii.kd
    .uniform_work_group_size: 1
    .uses_dynamic_stack: false
    .vgpr_count:     41
    .vgpr_spill_count: 0
    .wavefront_size: 32
    .workgroup_processor_mode: 1
  - .args:
      - .offset:         0
        .size:           4
        .value_kind:     by_value
      - .offset:         4
        .size:           4
        .value_kind:     by_value
      - .offset:         8
        .size:           4
        .value_kind:     by_value
      - .address_space:  global
        .offset:         16
        .size:           8
        .value_kind:     global_buffer
      - .actual_access:  read_only
        .address_space:  global
        .offset:         24
        .size:           8
        .value_kind:     global_buffer
      - .address_space:  global
        .offset:         32
        .size:           8
        .value_kind:     global_buffer
      - .actual_access:  read_only
        .address_space:  global
        .offset:         40
        .size:           8
        .value_kind:     global_buffer
      - .actual_access:  read_only
        .address_space:  global
        .offset:         48
        .size:           8
        .value_kind:     global_buffer
      - .offset:         56
        .size:           4
        .value_kind:     by_value
      - .offset:         60
        .size:           4
        .value_kind:     by_value
      - .offset:         64
        .size:           4
        .value_kind:     hidden_block_count_x
      - .offset:         68
        .size:           4
        .value_kind:     hidden_block_count_y
      - .offset:         72
        .size:           4
        .value_kind:     hidden_block_count_z
      - .offset:         76
        .size:           2
        .value_kind:     hidden_group_size_x
      - .offset:         78
        .size:           2
        .value_kind:     hidden_group_size_y
      - .offset:         80
        .size:           2
        .value_kind:     hidden_group_size_z
      - .offset:         82
        .size:           2
        .value_kind:     hidden_remainder_x
      - .offset:         84
        .size:           2
        .value_kind:     hidden_remainder_y
      - .offset:         86
        .size:           2
        .value_kind:     hidden_remainder_z
      - .offset:         104
        .size:           8
        .value_kind:     hidden_global_offset_x
      - .offset:         112
        .size:           8
        .value_kind:     hidden_global_offset_y
      - .offset:         120
        .size:           8
        .value_kind:     hidden_global_offset_z
      - .offset:         128
        .size:           2
        .value_kind:     hidden_grid_dims
      - .offset:         144
        .size:           8
        .value_kind:     hidden_hostcall_buffer
    .group_segment_fixed_size: 0
    .kernarg_segment_align: 8
    .kernarg_segment_size: 320
    .language:       OpenCL C
    .language_version:
      - 2
      - 0
    .max_flat_workgroup_size: 1024
    .name:           _Z17wvSplitKQ_hf_sml_I6__halfN3c1015Float8_e4m3fnuzELi64ELi4ELi16ELi16ELi1ELi4EEviiiPKT0_S5_PT_PKfS9_ii
    .private_segment_fixed_size: 64
    .sgpr_count:     36
    .sgpr_spill_count: 0
    .symbol:         _Z17wvSplitKQ_hf_sml_I6__halfN3c1015Float8_e4m3fnuzELi64ELi4ELi16ELi16ELi1ELi4EEviiiPKT0_S5_PT_PKfS9_ii.kd
    .uniform_work_group_size: 1
    .uses_dynamic_stack: false
    .vgpr_count:     41
    .vgpr_spill_count: 0
    .wavefront_size: 32
    .workgroup_processor_mode: 1
  - .args:
      - .offset:         0
        .size:           4
        .value_kind:     by_value
      - .offset:         4
        .size:           4
        .value_kind:     by_value
      - .offset:         8
        .size:           4
        .value_kind:     by_value
      - .address_space:  global
        .offset:         16
        .size:           8
        .value_kind:     global_buffer
      - .actual_access:  read_only
        .address_space:  global
        .offset:         24
        .size:           8
        .value_kind:     global_buffer
      - .address_space:  global
        .offset:         32
        .size:           8
        .value_kind:     global_buffer
      - .actual_access:  read_only
        .address_space:  global
        .offset:         40
        .size:           8
        .value_kind:     global_buffer
      - .actual_access:  read_only
        .address_space:  global
        .offset:         48
        .size:           8
        .value_kind:     global_buffer
      - .offset:         56
        .size:           4
        .value_kind:     by_value
      - .offset:         60
        .size:           4
        .value_kind:     by_value
      - .offset:         64
        .size:           4
        .value_kind:     hidden_block_count_x
      - .offset:         68
        .size:           4
        .value_kind:     hidden_block_count_y
      - .offset:         72
        .size:           4
        .value_kind:     hidden_block_count_z
      - .offset:         76
        .size:           2
        .value_kind:     hidden_group_size_x
      - .offset:         78
        .size:           2
        .value_kind:     hidden_group_size_y
      - .offset:         80
        .size:           2
        .value_kind:     hidden_group_size_z
      - .offset:         82
        .size:           2
        .value_kind:     hidden_remainder_x
      - .offset:         84
        .size:           2
        .value_kind:     hidden_remainder_y
      - .offset:         86
        .size:           2
        .value_kind:     hidden_remainder_z
      - .offset:         104
        .size:           8
        .value_kind:     hidden_global_offset_x
      - .offset:         112
        .size:           8
        .value_kind:     hidden_global_offset_y
      - .offset:         120
        .size:           8
        .value_kind:     hidden_global_offset_z
      - .offset:         128
        .size:           2
        .value_kind:     hidden_grid_dims
      - .offset:         144
        .size:           8
        .value_kind:     hidden_hostcall_buffer
    .group_segment_fixed_size: 0
    .kernarg_segment_align: 8
    .kernarg_segment_size: 320
    .language:       OpenCL C
    .language_version:
      - 2
      - 0
    .max_flat_workgroup_size: 1024
    .name:           _Z13wvSplitKQ_hf_I6__halfN3c1015Float8_e4m3fnuzELi64ELi7ELi16ELi16ELi1ELi4EEviiiPKT0_S5_PT_PKfS9_ii
    .private_segment_fixed_size: 64
    .sgpr_count:     36
    .sgpr_spill_count: 0
    .symbol:         _Z13wvSplitKQ_hf_I6__halfN3c1015Float8_e4m3fnuzELi64ELi7ELi16ELi16ELi1ELi4EEviiiPKT0_S5_PT_PKfS9_ii.kd
    .uniform_work_group_size: 1
    .uses_dynamic_stack: false
    .vgpr_count:     41
    .vgpr_spill_count: 0
    .wavefront_size: 32
    .workgroup_processor_mode: 1
  - .args:
      - .offset:         0
        .size:           4
        .value_kind:     by_value
      - .offset:         4
        .size:           4
        .value_kind:     by_value
      - .offset:         8
        .size:           4
        .value_kind:     by_value
      - .address_space:  global
        .offset:         16
        .size:           8
        .value_kind:     global_buffer
      - .actual_access:  read_only
        .address_space:  global
        .offset:         24
        .size:           8
        .value_kind:     global_buffer
      - .address_space:  global
        .offset:         32
        .size:           8
        .value_kind:     global_buffer
      - .actual_access:  read_only
        .address_space:  global
        .offset:         40
        .size:           8
        .value_kind:     global_buffer
      - .actual_access:  read_only
        .address_space:  global
        .offset:         48
        .size:           8
        .value_kind:     global_buffer
      - .offset:         56
        .size:           4
        .value_kind:     by_value
      - .offset:         60
        .size:           4
        .value_kind:     by_value
      - .offset:         64
        .size:           4
        .value_kind:     hidden_block_count_x
      - .offset:         68
        .size:           4
        .value_kind:     hidden_block_count_y
      - .offset:         72
        .size:           4
        .value_kind:     hidden_block_count_z
      - .offset:         76
        .size:           2
        .value_kind:     hidden_group_size_x
      - .offset:         78
        .size:           2
        .value_kind:     hidden_group_size_y
      - .offset:         80
        .size:           2
        .value_kind:     hidden_group_size_z
      - .offset:         82
        .size:           2
        .value_kind:     hidden_remainder_x
      - .offset:         84
        .size:           2
        .value_kind:     hidden_remainder_y
      - .offset:         86
        .size:           2
        .value_kind:     hidden_remainder_z
      - .offset:         104
        .size:           8
        .value_kind:     hidden_global_offset_x
      - .offset:         112
        .size:           8
        .value_kind:     hidden_global_offset_y
      - .offset:         120
        .size:           8
        .value_kind:     hidden_global_offset_z
      - .offset:         128
        .size:           2
        .value_kind:     hidden_grid_dims
      - .offset:         144
        .size:           8
        .value_kind:     hidden_hostcall_buffer
    .group_segment_fixed_size: 0
    .kernarg_segment_align: 8
    .kernarg_segment_size: 320
    .language:       OpenCL C
    .language_version:
      - 2
      - 0
    .max_flat_workgroup_size: 1024
    .name:           _Z17wvSplitKQ_hf_sml_I14__hip_bfloat16N3c1013Float8_e4m3fnELi64ELi2ELi16ELi16ELi2ELi1EEviiiPKT0_S5_PT_PKfS9_ii
    .private_segment_fixed_size: 64
    .sgpr_count:     36
    .sgpr_spill_count: 0
    .symbol:         _Z17wvSplitKQ_hf_sml_I14__hip_bfloat16N3c1013Float8_e4m3fnELi64ELi2ELi16ELi16ELi2ELi1EEviiiPKT0_S5_PT_PKfS9_ii.kd
    .uniform_work_group_size: 1
    .uses_dynamic_stack: false
    .vgpr_count:     41
    .vgpr_spill_count: 0
    .wavefront_size: 32
    .workgroup_processor_mode: 1
  - .args:
      - .offset:         0
        .size:           4
        .value_kind:     by_value
      - .offset:         4
        .size:           4
        .value_kind:     by_value
      - .offset:         8
        .size:           4
        .value_kind:     by_value
      - .address_space:  global
        .offset:         16
        .size:           8
        .value_kind:     global_buffer
      - .actual_access:  read_only
        .address_space:  global
        .offset:         24
        .size:           8
        .value_kind:     global_buffer
      - .address_space:  global
        .offset:         32
        .size:           8
        .value_kind:     global_buffer
      - .actual_access:  read_only
        .address_space:  global
        .offset:         40
        .size:           8
        .value_kind:     global_buffer
      - .actual_access:  read_only
        .address_space:  global
        .offset:         48
        .size:           8
        .value_kind:     global_buffer
      - .offset:         56
        .size:           4
        .value_kind:     by_value
      - .offset:         60
        .size:           4
        .value_kind:     by_value
      - .offset:         64
        .size:           4
        .value_kind:     hidden_block_count_x
      - .offset:         68
        .size:           4
        .value_kind:     hidden_block_count_y
      - .offset:         72
        .size:           4
        .value_kind:     hidden_block_count_z
      - .offset:         76
        .size:           2
        .value_kind:     hidden_group_size_x
      - .offset:         78
        .size:           2
        .value_kind:     hidden_group_size_y
      - .offset:         80
        .size:           2
        .value_kind:     hidden_group_size_z
      - .offset:         82
        .size:           2
        .value_kind:     hidden_remainder_x
      - .offset:         84
        .size:           2
        .value_kind:     hidden_remainder_y
      - .offset:         86
        .size:           2
        .value_kind:     hidden_remainder_z
      - .offset:         104
        .size:           8
        .value_kind:     hidden_global_offset_x
      - .offset:         112
        .size:           8
        .value_kind:     hidden_global_offset_y
      - .offset:         120
        .size:           8
        .value_kind:     hidden_global_offset_z
      - .offset:         128
        .size:           2
        .value_kind:     hidden_grid_dims
      - .offset:         144
        .size:           8
        .value_kind:     hidden_hostcall_buffer
    .group_segment_fixed_size: 0
    .kernarg_segment_align: 8
    .kernarg_segment_size: 320
    .language:       OpenCL C
    .language_version:
      - 2
      - 0
    .max_flat_workgroup_size: 1024
    .name:           _Z13wvSplitKQ_hf_I14__hip_bfloat16N3c1013Float8_e4m3fnELi64ELi2ELi16ELi16ELi2ELi1EEviiiPKT0_S5_PT_PKfS9_ii
    .private_segment_fixed_size: 64
    .sgpr_count:     36
    .sgpr_spill_count: 0
    .symbol:         _Z13wvSplitKQ_hf_I14__hip_bfloat16N3c1013Float8_e4m3fnELi64ELi2ELi16ELi16ELi2ELi1EEviiiPKT0_S5_PT_PKfS9_ii.kd
    .uniform_work_group_size: 1
    .uses_dynamic_stack: false
    .vgpr_count:     41
    .vgpr_spill_count: 0
    .wavefront_size: 32
    .workgroup_processor_mode: 1
  - .args:
      - .offset:         0
        .size:           4
        .value_kind:     by_value
      - .offset:         4
        .size:           4
        .value_kind:     by_value
      - .offset:         8
        .size:           4
        .value_kind:     by_value
      - .address_space:  global
        .offset:         16
        .size:           8
        .value_kind:     global_buffer
      - .actual_access:  read_only
        .address_space:  global
        .offset:         24
        .size:           8
        .value_kind:     global_buffer
      - .address_space:  global
        .offset:         32
        .size:           8
        .value_kind:     global_buffer
      - .actual_access:  read_only
        .address_space:  global
        .offset:         40
        .size:           8
        .value_kind:     global_buffer
      - .actual_access:  read_only
        .address_space:  global
        .offset:         48
        .size:           8
        .value_kind:     global_buffer
      - .offset:         56
        .size:           4
        .value_kind:     by_value
      - .offset:         60
        .size:           4
        .value_kind:     by_value
      - .offset:         64
        .size:           4
        .value_kind:     hidden_block_count_x
      - .offset:         68
        .size:           4
        .value_kind:     hidden_block_count_y
      - .offset:         72
        .size:           4
        .value_kind:     hidden_block_count_z
      - .offset:         76
        .size:           2
        .value_kind:     hidden_group_size_x
      - .offset:         78
        .size:           2
        .value_kind:     hidden_group_size_y
      - .offset:         80
        .size:           2
        .value_kind:     hidden_group_size_z
      - .offset:         82
        .size:           2
        .value_kind:     hidden_remainder_x
      - .offset:         84
        .size:           2
        .value_kind:     hidden_remainder_y
      - .offset:         86
        .size:           2
        .value_kind:     hidden_remainder_z
      - .offset:         104
        .size:           8
        .value_kind:     hidden_global_offset_x
      - .offset:         112
        .size:           8
        .value_kind:     hidden_global_offset_y
      - .offset:         120
        .size:           8
        .value_kind:     hidden_global_offset_z
      - .offset:         128
        .size:           2
        .value_kind:     hidden_grid_dims
      - .offset:         144
        .size:           8
        .value_kind:     hidden_hostcall_buffer
    .group_segment_fixed_size: 0
    .kernarg_segment_align: 8
    .kernarg_segment_size: 320
    .language:       OpenCL C
    .language_version:
      - 2
      - 0
    .max_flat_workgroup_size: 1024
    .name:           _Z17wvSplitKQ_hf_sml_I14__hip_bfloat16N3c1013Float8_e4m3fnELi64ELi2ELi16ELi16ELi2ELi2EEviiiPKT0_S5_PT_PKfS9_ii
    .private_segment_fixed_size: 64
    .sgpr_count:     36
    .sgpr_spill_count: 0
    .symbol:         _Z17wvSplitKQ_hf_sml_I14__hip_bfloat16N3c1013Float8_e4m3fnELi64ELi2ELi16ELi16ELi2ELi2EEviiiPKT0_S5_PT_PKfS9_ii.kd
    .uniform_work_group_size: 1
    .uses_dynamic_stack: false
    .vgpr_count:     41
    .vgpr_spill_count: 0
    .wavefront_size: 32
    .workgroup_processor_mode: 1
  - .args:
      - .offset:         0
        .size:           4
        .value_kind:     by_value
      - .offset:         4
        .size:           4
        .value_kind:     by_value
      - .offset:         8
        .size:           4
        .value_kind:     by_value
      - .address_space:  global
        .offset:         16
        .size:           8
        .value_kind:     global_buffer
      - .actual_access:  read_only
        .address_space:  global
        .offset:         24
        .size:           8
        .value_kind:     global_buffer
      - .address_space:  global
        .offset:         32
        .size:           8
        .value_kind:     global_buffer
      - .actual_access:  read_only
        .address_space:  global
        .offset:         40
        .size:           8
        .value_kind:     global_buffer
      - .actual_access:  read_only
        .address_space:  global
        .offset:         48
        .size:           8
        .value_kind:     global_buffer
      - .offset:         56
        .size:           4
        .value_kind:     by_value
      - .offset:         60
        .size:           4
        .value_kind:     by_value
      - .offset:         64
        .size:           4
        .value_kind:     hidden_block_count_x
      - .offset:         68
        .size:           4
        .value_kind:     hidden_block_count_y
      - .offset:         72
        .size:           4
        .value_kind:     hidden_block_count_z
      - .offset:         76
        .size:           2
        .value_kind:     hidden_group_size_x
      - .offset:         78
        .size:           2
        .value_kind:     hidden_group_size_y
      - .offset:         80
        .size:           2
        .value_kind:     hidden_group_size_z
      - .offset:         82
        .size:           2
        .value_kind:     hidden_remainder_x
      - .offset:         84
        .size:           2
        .value_kind:     hidden_remainder_y
      - .offset:         86
        .size:           2
        .value_kind:     hidden_remainder_z
      - .offset:         104
        .size:           8
        .value_kind:     hidden_global_offset_x
      - .offset:         112
        .size:           8
        .value_kind:     hidden_global_offset_y
      - .offset:         120
        .size:           8
        .value_kind:     hidden_global_offset_z
      - .offset:         128
        .size:           2
        .value_kind:     hidden_grid_dims
      - .offset:         144
        .size:           8
        .value_kind:     hidden_hostcall_buffer
    .group_segment_fixed_size: 0
    .kernarg_segment_align: 8
    .kernarg_segment_size: 320
    .language:       OpenCL C
    .language_version:
      - 2
      - 0
    .max_flat_workgroup_size: 1024
    .name:           _Z13wvSplitKQ_hf_I14__hip_bfloat16N3c1013Float8_e4m3fnELi64ELi2ELi16ELi16ELi2ELi2EEviiiPKT0_S5_PT_PKfS9_ii
    .private_segment_fixed_size: 64
    .sgpr_count:     36
    .sgpr_spill_count: 0
    .symbol:         _Z13wvSplitKQ_hf_I14__hip_bfloat16N3c1013Float8_e4m3fnELi64ELi2ELi16ELi16ELi2ELi2EEviiiPKT0_S5_PT_PKfS9_ii.kd
    .uniform_work_group_size: 1
    .uses_dynamic_stack: false
    .vgpr_count:     41
    .vgpr_spill_count: 0
    .wavefront_size: 32
    .workgroup_processor_mode: 1
  - .args:
      - .offset:         0
        .size:           4
        .value_kind:     by_value
      - .offset:         4
        .size:           4
        .value_kind:     by_value
      - .offset:         8
        .size:           4
        .value_kind:     by_value
      - .address_space:  global
        .offset:         16
        .size:           8
        .value_kind:     global_buffer
      - .actual_access:  read_only
        .address_space:  global
        .offset:         24
        .size:           8
        .value_kind:     global_buffer
      - .address_space:  global
        .offset:         32
        .size:           8
        .value_kind:     global_buffer
      - .actual_access:  read_only
        .address_space:  global
        .offset:         40
        .size:           8
        .value_kind:     global_buffer
      - .actual_access:  read_only
        .address_space:  global
        .offset:         48
        .size:           8
        .value_kind:     global_buffer
      - .offset:         56
        .size:           4
        .value_kind:     by_value
      - .offset:         60
        .size:           4
        .value_kind:     by_value
      - .offset:         64
        .size:           4
        .value_kind:     hidden_block_count_x
      - .offset:         68
        .size:           4
        .value_kind:     hidden_block_count_y
      - .offset:         72
        .size:           4
        .value_kind:     hidden_block_count_z
      - .offset:         76
        .size:           2
        .value_kind:     hidden_group_size_x
      - .offset:         78
        .size:           2
        .value_kind:     hidden_group_size_y
      - .offset:         80
        .size:           2
        .value_kind:     hidden_group_size_z
      - .offset:         82
        .size:           2
        .value_kind:     hidden_remainder_x
      - .offset:         84
        .size:           2
        .value_kind:     hidden_remainder_y
      - .offset:         86
        .size:           2
        .value_kind:     hidden_remainder_z
      - .offset:         104
        .size:           8
        .value_kind:     hidden_global_offset_x
      - .offset:         112
        .size:           8
        .value_kind:     hidden_global_offset_y
      - .offset:         120
        .size:           8
        .value_kind:     hidden_global_offset_z
      - .offset:         128
        .size:           2
        .value_kind:     hidden_grid_dims
      - .offset:         144
        .size:           8
        .value_kind:     hidden_hostcall_buffer
    .group_segment_fixed_size: 0
    .kernarg_segment_align: 8
    .kernarg_segment_size: 320
    .language:       OpenCL C
    .language_version:
      - 2
      - 0
    .max_flat_workgroup_size: 1024
    .name:           _Z17wvSplitKQ_hf_sml_I14__hip_bfloat16N3c1013Float8_e4m3fnELi64ELi4ELi16ELi16ELi1ELi3EEviiiPKT0_S5_PT_PKfS9_ii
    .private_segment_fixed_size: 64
    .sgpr_count:     36
    .sgpr_spill_count: 0
    .symbol:         _Z17wvSplitKQ_hf_sml_I14__hip_bfloat16N3c1013Float8_e4m3fnELi64ELi4ELi16ELi16ELi1ELi3EEviiiPKT0_S5_PT_PKfS9_ii.kd
    .uniform_work_group_size: 1
    .uses_dynamic_stack: false
    .vgpr_count:     41
    .vgpr_spill_count: 0
    .wavefront_size: 32
    .workgroup_processor_mode: 1
  - .args:
      - .offset:         0
        .size:           4
        .value_kind:     by_value
      - .offset:         4
        .size:           4
        .value_kind:     by_value
      - .offset:         8
        .size:           4
        .value_kind:     by_value
      - .address_space:  global
        .offset:         16
        .size:           8
        .value_kind:     global_buffer
      - .actual_access:  read_only
        .address_space:  global
        .offset:         24
        .size:           8
        .value_kind:     global_buffer
      - .address_space:  global
        .offset:         32
        .size:           8
        .value_kind:     global_buffer
      - .actual_access:  read_only
        .address_space:  global
        .offset:         40
        .size:           8
        .value_kind:     global_buffer
      - .actual_access:  read_only
        .address_space:  global
        .offset:         48
        .size:           8
        .value_kind:     global_buffer
      - .offset:         56
        .size:           4
        .value_kind:     by_value
      - .offset:         60
        .size:           4
        .value_kind:     by_value
      - .offset:         64
        .size:           4
        .value_kind:     hidden_block_count_x
      - .offset:         68
        .size:           4
        .value_kind:     hidden_block_count_y
      - .offset:         72
        .size:           4
        .value_kind:     hidden_block_count_z
      - .offset:         76
        .size:           2
        .value_kind:     hidden_group_size_x
      - .offset:         78
        .size:           2
        .value_kind:     hidden_group_size_y
      - .offset:         80
        .size:           2
        .value_kind:     hidden_group_size_z
      - .offset:         82
        .size:           2
        .value_kind:     hidden_remainder_x
      - .offset:         84
        .size:           2
        .value_kind:     hidden_remainder_y
      - .offset:         86
        .size:           2
        .value_kind:     hidden_remainder_z
      - .offset:         104
        .size:           8
        .value_kind:     hidden_global_offset_x
      - .offset:         112
        .size:           8
        .value_kind:     hidden_global_offset_y
      - .offset:         120
        .size:           8
        .value_kind:     hidden_global_offset_z
      - .offset:         128
        .size:           2
        .value_kind:     hidden_grid_dims
      - .offset:         144
        .size:           8
        .value_kind:     hidden_hostcall_buffer
    .group_segment_fixed_size: 0
    .kernarg_segment_align: 8
    .kernarg_segment_size: 320
    .language:       OpenCL C
    .language_version:
      - 2
      - 0
    .max_flat_workgroup_size: 1024
    .name:           _Z13wvSplitKQ_hf_I14__hip_bfloat16N3c1013Float8_e4m3fnELi64ELi7ELi16ELi16ELi1ELi3EEviiiPKT0_S5_PT_PKfS9_ii
    .private_segment_fixed_size: 64
    .sgpr_count:     36
    .sgpr_spill_count: 0
    .symbol:         _Z13wvSplitKQ_hf_I14__hip_bfloat16N3c1013Float8_e4m3fnELi64ELi7ELi16ELi16ELi1ELi3EEviiiPKT0_S5_PT_PKfS9_ii.kd
    .uniform_work_group_size: 1
    .uses_dynamic_stack: false
    .vgpr_count:     41
    .vgpr_spill_count: 0
    .wavefront_size: 32
    .workgroup_processor_mode: 1
  - .args:
      - .offset:         0
        .size:           4
        .value_kind:     by_value
      - .offset:         4
        .size:           4
        .value_kind:     by_value
      - .offset:         8
        .size:           4
        .value_kind:     by_value
      - .address_space:  global
        .offset:         16
        .size:           8
        .value_kind:     global_buffer
      - .actual_access:  read_only
        .address_space:  global
        .offset:         24
        .size:           8
        .value_kind:     global_buffer
      - .address_space:  global
        .offset:         32
        .size:           8
        .value_kind:     global_buffer
      - .actual_access:  read_only
        .address_space:  global
        .offset:         40
        .size:           8
        .value_kind:     global_buffer
      - .actual_access:  read_only
        .address_space:  global
        .offset:         48
        .size:           8
        .value_kind:     global_buffer
      - .offset:         56
        .size:           4
        .value_kind:     by_value
      - .offset:         60
        .size:           4
        .value_kind:     by_value
      - .offset:         64
        .size:           4
        .value_kind:     hidden_block_count_x
      - .offset:         68
        .size:           4
        .value_kind:     hidden_block_count_y
      - .offset:         72
        .size:           4
        .value_kind:     hidden_block_count_z
      - .offset:         76
        .size:           2
        .value_kind:     hidden_group_size_x
      - .offset:         78
        .size:           2
        .value_kind:     hidden_group_size_y
      - .offset:         80
        .size:           2
        .value_kind:     hidden_group_size_z
      - .offset:         82
        .size:           2
        .value_kind:     hidden_remainder_x
      - .offset:         84
        .size:           2
        .value_kind:     hidden_remainder_y
      - .offset:         86
        .size:           2
        .value_kind:     hidden_remainder_z
      - .offset:         104
        .size:           8
        .value_kind:     hidden_global_offset_x
      - .offset:         112
        .size:           8
        .value_kind:     hidden_global_offset_y
      - .offset:         120
        .size:           8
        .value_kind:     hidden_global_offset_z
      - .offset:         128
        .size:           2
        .value_kind:     hidden_grid_dims
      - .offset:         144
        .size:           8
        .value_kind:     hidden_hostcall_buffer
    .group_segment_fixed_size: 0
    .kernarg_segment_align: 8
    .kernarg_segment_size: 320
    .language:       OpenCL C
    .language_version:
      - 2
      - 0
    .max_flat_workgroup_size: 1024
    .name:           _Z17wvSplitKQ_hf_sml_I14__hip_bfloat16N3c1013Float8_e4m3fnELi64ELi4ELi16ELi16ELi1ELi4EEviiiPKT0_S5_PT_PKfS9_ii
    .private_segment_fixed_size: 64
    .sgpr_count:     36
    .sgpr_spill_count: 0
    .symbol:         _Z17wvSplitKQ_hf_sml_I14__hip_bfloat16N3c1013Float8_e4m3fnELi64ELi4ELi16ELi16ELi1ELi4EEviiiPKT0_S5_PT_PKfS9_ii.kd
    .uniform_work_group_size: 1
    .uses_dynamic_stack: false
    .vgpr_count:     41
    .vgpr_spill_count: 0
    .wavefront_size: 32
    .workgroup_processor_mode: 1
  - .args:
      - .offset:         0
        .size:           4
        .value_kind:     by_value
      - .offset:         4
        .size:           4
        .value_kind:     by_value
      - .offset:         8
        .size:           4
        .value_kind:     by_value
      - .address_space:  global
        .offset:         16
        .size:           8
        .value_kind:     global_buffer
      - .actual_access:  read_only
        .address_space:  global
        .offset:         24
        .size:           8
        .value_kind:     global_buffer
      - .address_space:  global
        .offset:         32
        .size:           8
        .value_kind:     global_buffer
      - .actual_access:  read_only
        .address_space:  global
        .offset:         40
        .size:           8
        .value_kind:     global_buffer
      - .actual_access:  read_only
        .address_space:  global
        .offset:         48
        .size:           8
        .value_kind:     global_buffer
      - .offset:         56
        .size:           4
        .value_kind:     by_value
      - .offset:         60
        .size:           4
        .value_kind:     by_value
      - .offset:         64
        .size:           4
        .value_kind:     hidden_block_count_x
      - .offset:         68
        .size:           4
        .value_kind:     hidden_block_count_y
      - .offset:         72
        .size:           4
        .value_kind:     hidden_block_count_z
      - .offset:         76
        .size:           2
        .value_kind:     hidden_group_size_x
      - .offset:         78
        .size:           2
        .value_kind:     hidden_group_size_y
      - .offset:         80
        .size:           2
        .value_kind:     hidden_group_size_z
      - .offset:         82
        .size:           2
        .value_kind:     hidden_remainder_x
      - .offset:         84
        .size:           2
        .value_kind:     hidden_remainder_y
      - .offset:         86
        .size:           2
        .value_kind:     hidden_remainder_z
      - .offset:         104
        .size:           8
        .value_kind:     hidden_global_offset_x
      - .offset:         112
        .size:           8
        .value_kind:     hidden_global_offset_y
      - .offset:         120
        .size:           8
        .value_kind:     hidden_global_offset_z
      - .offset:         128
        .size:           2
        .value_kind:     hidden_grid_dims
      - .offset:         144
        .size:           8
        .value_kind:     hidden_hostcall_buffer
    .group_segment_fixed_size: 0
    .kernarg_segment_align: 8
    .kernarg_segment_size: 320
    .language:       OpenCL C
    .language_version:
      - 2
      - 0
    .max_flat_workgroup_size: 1024
    .name:           _Z13wvSplitKQ_hf_I14__hip_bfloat16N3c1013Float8_e4m3fnELi64ELi7ELi16ELi16ELi1ELi4EEviiiPKT0_S5_PT_PKfS9_ii
    .private_segment_fixed_size: 64
    .sgpr_count:     36
    .sgpr_spill_count: 0
    .symbol:         _Z13wvSplitKQ_hf_I14__hip_bfloat16N3c1013Float8_e4m3fnELi64ELi7ELi16ELi16ELi1ELi4EEviiiPKT0_S5_PT_PKfS9_ii.kd
    .uniform_work_group_size: 1
    .uses_dynamic_stack: false
    .vgpr_count:     41
    .vgpr_spill_count: 0
    .wavefront_size: 32
    .workgroup_processor_mode: 1
  - .args:
      - .offset:         0
        .size:           4
        .value_kind:     by_value
      - .offset:         4
        .size:           4
        .value_kind:     by_value
      - .offset:         8
        .size:           4
        .value_kind:     by_value
      - .address_space:  global
        .offset:         16
        .size:           8
        .value_kind:     global_buffer
      - .actual_access:  read_only
        .address_space:  global
        .offset:         24
        .size:           8
        .value_kind:     global_buffer
      - .address_space:  global
        .offset:         32
        .size:           8
        .value_kind:     global_buffer
      - .actual_access:  read_only
        .address_space:  global
        .offset:         40
        .size:           8
        .value_kind:     global_buffer
      - .actual_access:  read_only
        .address_space:  global
        .offset:         48
        .size:           8
        .value_kind:     global_buffer
      - .offset:         56
        .size:           4
        .value_kind:     by_value
      - .offset:         60
        .size:           4
        .value_kind:     by_value
      - .offset:         64
        .size:           4
        .value_kind:     hidden_block_count_x
      - .offset:         68
        .size:           4
        .value_kind:     hidden_block_count_y
      - .offset:         72
        .size:           4
        .value_kind:     hidden_block_count_z
      - .offset:         76
        .size:           2
        .value_kind:     hidden_group_size_x
      - .offset:         78
        .size:           2
        .value_kind:     hidden_group_size_y
      - .offset:         80
        .size:           2
        .value_kind:     hidden_group_size_z
      - .offset:         82
        .size:           2
        .value_kind:     hidden_remainder_x
      - .offset:         84
        .size:           2
        .value_kind:     hidden_remainder_y
      - .offset:         86
        .size:           2
        .value_kind:     hidden_remainder_z
      - .offset:         104
        .size:           8
        .value_kind:     hidden_global_offset_x
      - .offset:         112
        .size:           8
        .value_kind:     hidden_global_offset_y
      - .offset:         120
        .size:           8
        .value_kind:     hidden_global_offset_z
      - .offset:         128
        .size:           2
        .value_kind:     hidden_grid_dims
      - .offset:         144
        .size:           8
        .value_kind:     hidden_hostcall_buffer
    .group_segment_fixed_size: 0
    .kernarg_segment_align: 8
    .kernarg_segment_size: 320
    .language:       OpenCL C
    .language_version:
      - 2
      - 0
    .max_flat_workgroup_size: 1024
    .name:           _Z17wvSplitKQ_hf_sml_I14__hip_bfloat16N3c1015Float8_e4m3fnuzELi64ELi2ELi16ELi16ELi2ELi1EEviiiPKT0_S5_PT_PKfS9_ii
    .private_segment_fixed_size: 64
    .sgpr_count:     36
    .sgpr_spill_count: 0
    .symbol:         _Z17wvSplitKQ_hf_sml_I14__hip_bfloat16N3c1015Float8_e4m3fnuzELi64ELi2ELi16ELi16ELi2ELi1EEviiiPKT0_S5_PT_PKfS9_ii.kd
    .uniform_work_group_size: 1
    .uses_dynamic_stack: false
    .vgpr_count:     41
    .vgpr_spill_count: 0
    .wavefront_size: 32
    .workgroup_processor_mode: 1
  - .args:
      - .offset:         0
        .size:           4
        .value_kind:     by_value
      - .offset:         4
        .size:           4
        .value_kind:     by_value
      - .offset:         8
        .size:           4
        .value_kind:     by_value
      - .address_space:  global
        .offset:         16
        .size:           8
        .value_kind:     global_buffer
      - .actual_access:  read_only
        .address_space:  global
        .offset:         24
        .size:           8
        .value_kind:     global_buffer
      - .address_space:  global
        .offset:         32
        .size:           8
        .value_kind:     global_buffer
      - .actual_access:  read_only
        .address_space:  global
        .offset:         40
        .size:           8
        .value_kind:     global_buffer
      - .actual_access:  read_only
        .address_space:  global
        .offset:         48
        .size:           8
        .value_kind:     global_buffer
      - .offset:         56
        .size:           4
        .value_kind:     by_value
      - .offset:         60
        .size:           4
        .value_kind:     by_value
      - .offset:         64
        .size:           4
        .value_kind:     hidden_block_count_x
      - .offset:         68
        .size:           4
        .value_kind:     hidden_block_count_y
      - .offset:         72
        .size:           4
        .value_kind:     hidden_block_count_z
      - .offset:         76
        .size:           2
        .value_kind:     hidden_group_size_x
      - .offset:         78
        .size:           2
        .value_kind:     hidden_group_size_y
      - .offset:         80
        .size:           2
        .value_kind:     hidden_group_size_z
      - .offset:         82
        .size:           2
        .value_kind:     hidden_remainder_x
      - .offset:         84
        .size:           2
        .value_kind:     hidden_remainder_y
      - .offset:         86
        .size:           2
        .value_kind:     hidden_remainder_z
      - .offset:         104
        .size:           8
        .value_kind:     hidden_global_offset_x
      - .offset:         112
        .size:           8
        .value_kind:     hidden_global_offset_y
      - .offset:         120
        .size:           8
        .value_kind:     hidden_global_offset_z
      - .offset:         128
        .size:           2
        .value_kind:     hidden_grid_dims
      - .offset:         144
        .size:           8
        .value_kind:     hidden_hostcall_buffer
    .group_segment_fixed_size: 0
    .kernarg_segment_align: 8
    .kernarg_segment_size: 320
    .language:       OpenCL C
    .language_version:
      - 2
      - 0
    .max_flat_workgroup_size: 1024
    .name:           _Z13wvSplitKQ_hf_I14__hip_bfloat16N3c1015Float8_e4m3fnuzELi64ELi2ELi16ELi16ELi2ELi1EEviiiPKT0_S5_PT_PKfS9_ii
    .private_segment_fixed_size: 64
    .sgpr_count:     36
    .sgpr_spill_count: 0
    .symbol:         _Z13wvSplitKQ_hf_I14__hip_bfloat16N3c1015Float8_e4m3fnuzELi64ELi2ELi16ELi16ELi2ELi1EEviiiPKT0_S5_PT_PKfS9_ii.kd
    .uniform_work_group_size: 1
    .uses_dynamic_stack: false
    .vgpr_count:     41
    .vgpr_spill_count: 0
    .wavefront_size: 32
    .workgroup_processor_mode: 1
  - .args:
      - .offset:         0
        .size:           4
        .value_kind:     by_value
      - .offset:         4
        .size:           4
        .value_kind:     by_value
      - .offset:         8
        .size:           4
        .value_kind:     by_value
      - .address_space:  global
        .offset:         16
        .size:           8
        .value_kind:     global_buffer
      - .actual_access:  read_only
        .address_space:  global
        .offset:         24
        .size:           8
        .value_kind:     global_buffer
      - .address_space:  global
        .offset:         32
        .size:           8
        .value_kind:     global_buffer
      - .actual_access:  read_only
        .address_space:  global
        .offset:         40
        .size:           8
        .value_kind:     global_buffer
      - .actual_access:  read_only
        .address_space:  global
        .offset:         48
        .size:           8
        .value_kind:     global_buffer
      - .offset:         56
        .size:           4
        .value_kind:     by_value
      - .offset:         60
        .size:           4
        .value_kind:     by_value
      - .offset:         64
        .size:           4
        .value_kind:     hidden_block_count_x
      - .offset:         68
        .size:           4
        .value_kind:     hidden_block_count_y
      - .offset:         72
        .size:           4
        .value_kind:     hidden_block_count_z
      - .offset:         76
        .size:           2
        .value_kind:     hidden_group_size_x
      - .offset:         78
        .size:           2
        .value_kind:     hidden_group_size_y
      - .offset:         80
        .size:           2
        .value_kind:     hidden_group_size_z
      - .offset:         82
        .size:           2
        .value_kind:     hidden_remainder_x
      - .offset:         84
        .size:           2
        .value_kind:     hidden_remainder_y
      - .offset:         86
        .size:           2
        .value_kind:     hidden_remainder_z
      - .offset:         104
        .size:           8
        .value_kind:     hidden_global_offset_x
      - .offset:         112
        .size:           8
        .value_kind:     hidden_global_offset_y
      - .offset:         120
        .size:           8
        .value_kind:     hidden_global_offset_z
      - .offset:         128
        .size:           2
        .value_kind:     hidden_grid_dims
      - .offset:         144
        .size:           8
        .value_kind:     hidden_hostcall_buffer
    .group_segment_fixed_size: 0
    .kernarg_segment_align: 8
    .kernarg_segment_size: 320
    .language:       OpenCL C
    .language_version:
      - 2
      - 0
    .max_flat_workgroup_size: 1024
    .name:           _Z17wvSplitKQ_hf_sml_I14__hip_bfloat16N3c1015Float8_e4m3fnuzELi64ELi2ELi16ELi16ELi2ELi2EEviiiPKT0_S5_PT_PKfS9_ii
    .private_segment_fixed_size: 64
    .sgpr_count:     36
    .sgpr_spill_count: 0
    .symbol:         _Z17wvSplitKQ_hf_sml_I14__hip_bfloat16N3c1015Float8_e4m3fnuzELi64ELi2ELi16ELi16ELi2ELi2EEviiiPKT0_S5_PT_PKfS9_ii.kd
    .uniform_work_group_size: 1
    .uses_dynamic_stack: false
    .vgpr_count:     41
    .vgpr_spill_count: 0
    .wavefront_size: 32
    .workgroup_processor_mode: 1
  - .args:
      - .offset:         0
        .size:           4
        .value_kind:     by_value
      - .offset:         4
        .size:           4
        .value_kind:     by_value
      - .offset:         8
        .size:           4
        .value_kind:     by_value
      - .address_space:  global
        .offset:         16
        .size:           8
        .value_kind:     global_buffer
      - .actual_access:  read_only
        .address_space:  global
        .offset:         24
        .size:           8
        .value_kind:     global_buffer
      - .address_space:  global
        .offset:         32
        .size:           8
        .value_kind:     global_buffer
      - .actual_access:  read_only
        .address_space:  global
        .offset:         40
        .size:           8
        .value_kind:     global_buffer
      - .actual_access:  read_only
        .address_space:  global
        .offset:         48
        .size:           8
        .value_kind:     global_buffer
      - .offset:         56
        .size:           4
        .value_kind:     by_value
      - .offset:         60
        .size:           4
        .value_kind:     by_value
      - .offset:         64
        .size:           4
        .value_kind:     hidden_block_count_x
      - .offset:         68
        .size:           4
        .value_kind:     hidden_block_count_y
      - .offset:         72
        .size:           4
        .value_kind:     hidden_block_count_z
      - .offset:         76
        .size:           2
        .value_kind:     hidden_group_size_x
      - .offset:         78
        .size:           2
        .value_kind:     hidden_group_size_y
      - .offset:         80
        .size:           2
        .value_kind:     hidden_group_size_z
      - .offset:         82
        .size:           2
        .value_kind:     hidden_remainder_x
      - .offset:         84
        .size:           2
        .value_kind:     hidden_remainder_y
      - .offset:         86
        .size:           2
        .value_kind:     hidden_remainder_z
      - .offset:         104
        .size:           8
        .value_kind:     hidden_global_offset_x
      - .offset:         112
        .size:           8
        .value_kind:     hidden_global_offset_y
      - .offset:         120
        .size:           8
        .value_kind:     hidden_global_offset_z
      - .offset:         128
        .size:           2
        .value_kind:     hidden_grid_dims
      - .offset:         144
        .size:           8
        .value_kind:     hidden_hostcall_buffer
    .group_segment_fixed_size: 0
    .kernarg_segment_align: 8
    .kernarg_segment_size: 320
    .language:       OpenCL C
    .language_version:
      - 2
      - 0
    .max_flat_workgroup_size: 1024
    .name:           _Z13wvSplitKQ_hf_I14__hip_bfloat16N3c1015Float8_e4m3fnuzELi64ELi2ELi16ELi16ELi2ELi2EEviiiPKT0_S5_PT_PKfS9_ii
    .private_segment_fixed_size: 64
    .sgpr_count:     36
    .sgpr_spill_count: 0
    .symbol:         _Z13wvSplitKQ_hf_I14__hip_bfloat16N3c1015Float8_e4m3fnuzELi64ELi2ELi16ELi16ELi2ELi2EEviiiPKT0_S5_PT_PKfS9_ii.kd
    .uniform_work_group_size: 1
    .uses_dynamic_stack: false
    .vgpr_count:     41
    .vgpr_spill_count: 0
    .wavefront_size: 32
    .workgroup_processor_mode: 1
  - .args:
      - .offset:         0
        .size:           4
        .value_kind:     by_value
      - .offset:         4
        .size:           4
        .value_kind:     by_value
      - .offset:         8
        .size:           4
        .value_kind:     by_value
      - .address_space:  global
        .offset:         16
        .size:           8
        .value_kind:     global_buffer
      - .actual_access:  read_only
        .address_space:  global
        .offset:         24
        .size:           8
        .value_kind:     global_buffer
      - .address_space:  global
        .offset:         32
        .size:           8
        .value_kind:     global_buffer
      - .actual_access:  read_only
        .address_space:  global
        .offset:         40
        .size:           8
        .value_kind:     global_buffer
      - .actual_access:  read_only
        .address_space:  global
        .offset:         48
        .size:           8
        .value_kind:     global_buffer
      - .offset:         56
        .size:           4
        .value_kind:     by_value
      - .offset:         60
        .size:           4
        .value_kind:     by_value
      - .offset:         64
        .size:           4
        .value_kind:     hidden_block_count_x
      - .offset:         68
        .size:           4
        .value_kind:     hidden_block_count_y
      - .offset:         72
        .size:           4
        .value_kind:     hidden_block_count_z
      - .offset:         76
        .size:           2
        .value_kind:     hidden_group_size_x
      - .offset:         78
        .size:           2
        .value_kind:     hidden_group_size_y
      - .offset:         80
        .size:           2
        .value_kind:     hidden_group_size_z
      - .offset:         82
        .size:           2
        .value_kind:     hidden_remainder_x
      - .offset:         84
        .size:           2
        .value_kind:     hidden_remainder_y
      - .offset:         86
        .size:           2
        .value_kind:     hidden_remainder_z
      - .offset:         104
        .size:           8
        .value_kind:     hidden_global_offset_x
      - .offset:         112
        .size:           8
        .value_kind:     hidden_global_offset_y
      - .offset:         120
        .size:           8
        .value_kind:     hidden_global_offset_z
      - .offset:         128
        .size:           2
        .value_kind:     hidden_grid_dims
      - .offset:         144
        .size:           8
        .value_kind:     hidden_hostcall_buffer
    .group_segment_fixed_size: 0
    .kernarg_segment_align: 8
    .kernarg_segment_size: 320
    .language:       OpenCL C
    .language_version:
      - 2
      - 0
    .max_flat_workgroup_size: 1024
    .name:           _Z17wvSplitKQ_hf_sml_I14__hip_bfloat16N3c1015Float8_e4m3fnuzELi64ELi4ELi16ELi16ELi1ELi3EEviiiPKT0_S5_PT_PKfS9_ii
    .private_segment_fixed_size: 64
    .sgpr_count:     36
    .sgpr_spill_count: 0
    .symbol:         _Z17wvSplitKQ_hf_sml_I14__hip_bfloat16N3c1015Float8_e4m3fnuzELi64ELi4ELi16ELi16ELi1ELi3EEviiiPKT0_S5_PT_PKfS9_ii.kd
    .uniform_work_group_size: 1
    .uses_dynamic_stack: false
    .vgpr_count:     41
    .vgpr_spill_count: 0
    .wavefront_size: 32
    .workgroup_processor_mode: 1
  - .args:
      - .offset:         0
        .size:           4
        .value_kind:     by_value
      - .offset:         4
        .size:           4
        .value_kind:     by_value
      - .offset:         8
        .size:           4
        .value_kind:     by_value
      - .address_space:  global
        .offset:         16
        .size:           8
        .value_kind:     global_buffer
      - .actual_access:  read_only
        .address_space:  global
        .offset:         24
        .size:           8
        .value_kind:     global_buffer
      - .address_space:  global
        .offset:         32
        .size:           8
        .value_kind:     global_buffer
      - .actual_access:  read_only
        .address_space:  global
        .offset:         40
        .size:           8
        .value_kind:     global_buffer
      - .actual_access:  read_only
        .address_space:  global
        .offset:         48
        .size:           8
        .value_kind:     global_buffer
      - .offset:         56
        .size:           4
        .value_kind:     by_value
      - .offset:         60
        .size:           4
        .value_kind:     by_value
      - .offset:         64
        .size:           4
        .value_kind:     hidden_block_count_x
      - .offset:         68
        .size:           4
        .value_kind:     hidden_block_count_y
      - .offset:         72
        .size:           4
        .value_kind:     hidden_block_count_z
      - .offset:         76
        .size:           2
        .value_kind:     hidden_group_size_x
      - .offset:         78
        .size:           2
        .value_kind:     hidden_group_size_y
      - .offset:         80
        .size:           2
        .value_kind:     hidden_group_size_z
      - .offset:         82
        .size:           2
        .value_kind:     hidden_remainder_x
      - .offset:         84
        .size:           2
        .value_kind:     hidden_remainder_y
      - .offset:         86
        .size:           2
        .value_kind:     hidden_remainder_z
      - .offset:         104
        .size:           8
        .value_kind:     hidden_global_offset_x
      - .offset:         112
        .size:           8
        .value_kind:     hidden_global_offset_y
      - .offset:         120
        .size:           8
        .value_kind:     hidden_global_offset_z
      - .offset:         128
        .size:           2
        .value_kind:     hidden_grid_dims
      - .offset:         144
        .size:           8
        .value_kind:     hidden_hostcall_buffer
    .group_segment_fixed_size: 0
    .kernarg_segment_align: 8
    .kernarg_segment_size: 320
    .language:       OpenCL C
    .language_version:
      - 2
      - 0
    .max_flat_workgroup_size: 1024
    .name:           _Z13wvSplitKQ_hf_I14__hip_bfloat16N3c1015Float8_e4m3fnuzELi64ELi7ELi16ELi16ELi1ELi3EEviiiPKT0_S5_PT_PKfS9_ii
    .private_segment_fixed_size: 64
    .sgpr_count:     36
    .sgpr_spill_count: 0
    .symbol:         _Z13wvSplitKQ_hf_I14__hip_bfloat16N3c1015Float8_e4m3fnuzELi64ELi7ELi16ELi16ELi1ELi3EEviiiPKT0_S5_PT_PKfS9_ii.kd
    .uniform_work_group_size: 1
    .uses_dynamic_stack: false
    .vgpr_count:     41
    .vgpr_spill_count: 0
    .wavefront_size: 32
    .workgroup_processor_mode: 1
  - .args:
      - .offset:         0
        .size:           4
        .value_kind:     by_value
      - .offset:         4
        .size:           4
        .value_kind:     by_value
      - .offset:         8
        .size:           4
        .value_kind:     by_value
      - .address_space:  global
        .offset:         16
        .size:           8
        .value_kind:     global_buffer
      - .actual_access:  read_only
        .address_space:  global
        .offset:         24
        .size:           8
        .value_kind:     global_buffer
      - .address_space:  global
        .offset:         32
        .size:           8
        .value_kind:     global_buffer
      - .actual_access:  read_only
        .address_space:  global
        .offset:         40
        .size:           8
        .value_kind:     global_buffer
      - .actual_access:  read_only
        .address_space:  global
        .offset:         48
        .size:           8
        .value_kind:     global_buffer
      - .offset:         56
        .size:           4
        .value_kind:     by_value
      - .offset:         60
        .size:           4
        .value_kind:     by_value
      - .offset:         64
        .size:           4
        .value_kind:     hidden_block_count_x
      - .offset:         68
        .size:           4
        .value_kind:     hidden_block_count_y
      - .offset:         72
        .size:           4
        .value_kind:     hidden_block_count_z
      - .offset:         76
        .size:           2
        .value_kind:     hidden_group_size_x
      - .offset:         78
        .size:           2
        .value_kind:     hidden_group_size_y
      - .offset:         80
        .size:           2
        .value_kind:     hidden_group_size_z
      - .offset:         82
        .size:           2
        .value_kind:     hidden_remainder_x
      - .offset:         84
        .size:           2
        .value_kind:     hidden_remainder_y
      - .offset:         86
        .size:           2
        .value_kind:     hidden_remainder_z
      - .offset:         104
        .size:           8
        .value_kind:     hidden_global_offset_x
      - .offset:         112
        .size:           8
        .value_kind:     hidden_global_offset_y
      - .offset:         120
        .size:           8
        .value_kind:     hidden_global_offset_z
      - .offset:         128
        .size:           2
        .value_kind:     hidden_grid_dims
      - .offset:         144
        .size:           8
        .value_kind:     hidden_hostcall_buffer
    .group_segment_fixed_size: 0
    .kernarg_segment_align: 8
    .kernarg_segment_size: 320
    .language:       OpenCL C
    .language_version:
      - 2
      - 0
    .max_flat_workgroup_size: 1024
    .name:           _Z17wvSplitKQ_hf_sml_I14__hip_bfloat16N3c1015Float8_e4m3fnuzELi64ELi4ELi16ELi16ELi1ELi4EEviiiPKT0_S5_PT_PKfS9_ii
    .private_segment_fixed_size: 64
    .sgpr_count:     36
    .sgpr_spill_count: 0
    .symbol:         _Z17wvSplitKQ_hf_sml_I14__hip_bfloat16N3c1015Float8_e4m3fnuzELi64ELi4ELi16ELi16ELi1ELi4EEviiiPKT0_S5_PT_PKfS9_ii.kd
    .uniform_work_group_size: 1
    .uses_dynamic_stack: false
    .vgpr_count:     41
    .vgpr_spill_count: 0
    .wavefront_size: 32
    .workgroup_processor_mode: 1
  - .args:
      - .offset:         0
        .size:           4
        .value_kind:     by_value
      - .offset:         4
        .size:           4
        .value_kind:     by_value
      - .offset:         8
        .size:           4
        .value_kind:     by_value
      - .address_space:  global
        .offset:         16
        .size:           8
        .value_kind:     global_buffer
      - .actual_access:  read_only
        .address_space:  global
        .offset:         24
        .size:           8
        .value_kind:     global_buffer
      - .address_space:  global
        .offset:         32
        .size:           8
        .value_kind:     global_buffer
      - .actual_access:  read_only
        .address_space:  global
        .offset:         40
        .size:           8
        .value_kind:     global_buffer
      - .actual_access:  read_only
        .address_space:  global
        .offset:         48
        .size:           8
        .value_kind:     global_buffer
      - .offset:         56
        .size:           4
        .value_kind:     by_value
      - .offset:         60
        .size:           4
        .value_kind:     by_value
      - .offset:         64
        .size:           4
        .value_kind:     hidden_block_count_x
      - .offset:         68
        .size:           4
        .value_kind:     hidden_block_count_y
      - .offset:         72
        .size:           4
        .value_kind:     hidden_block_count_z
      - .offset:         76
        .size:           2
        .value_kind:     hidden_group_size_x
      - .offset:         78
        .size:           2
        .value_kind:     hidden_group_size_y
      - .offset:         80
        .size:           2
        .value_kind:     hidden_group_size_z
      - .offset:         82
        .size:           2
        .value_kind:     hidden_remainder_x
      - .offset:         84
        .size:           2
        .value_kind:     hidden_remainder_y
      - .offset:         86
        .size:           2
        .value_kind:     hidden_remainder_z
      - .offset:         104
        .size:           8
        .value_kind:     hidden_global_offset_x
      - .offset:         112
        .size:           8
        .value_kind:     hidden_global_offset_y
      - .offset:         120
        .size:           8
        .value_kind:     hidden_global_offset_z
      - .offset:         128
        .size:           2
        .value_kind:     hidden_grid_dims
      - .offset:         144
        .size:           8
        .value_kind:     hidden_hostcall_buffer
    .group_segment_fixed_size: 0
    .kernarg_segment_align: 8
    .kernarg_segment_size: 320
    .language:       OpenCL C
    .language_version:
      - 2
      - 0
    .max_flat_workgroup_size: 1024
    .name:           _Z13wvSplitKQ_hf_I14__hip_bfloat16N3c1015Float8_e4m3fnuzELi64ELi7ELi16ELi16ELi1ELi4EEviiiPKT0_S5_PT_PKfS9_ii
    .private_segment_fixed_size: 64
    .sgpr_count:     36
    .sgpr_spill_count: 0
    .symbol:         _Z13wvSplitKQ_hf_I14__hip_bfloat16N3c1015Float8_e4m3fnuzELi64ELi7ELi16ELi16ELi1ELi4EEviiiPKT0_S5_PT_PKfS9_ii.kd
    .uniform_work_group_size: 1
    .uses_dynamic_stack: false
    .vgpr_count:     41
    .vgpr_spill_count: 0
    .wavefront_size: 32
    .workgroup_processor_mode: 1
amdhsa.target:   amdgcn-amd-amdhsa--gfx1030
amdhsa.version:
  - 1
  - 2
...

	.end_amdgpu_metadata
